;; amdgpu-corpus repo=ROCm/rocFFT kind=compiled arch=gfx1201 opt=O3
	.text
	.amdgcn_target "amdgcn-amd-amdhsa--gfx1201"
	.amdhsa_code_object_version 6
	.protected	fft_rtc_fwd_len1890_factors_2_3_3_3_7_5_wgs_126_tpt_126_halfLds_dp_ip_CI_sbrr_dirReg ; -- Begin function fft_rtc_fwd_len1890_factors_2_3_3_3_7_5_wgs_126_tpt_126_halfLds_dp_ip_CI_sbrr_dirReg
	.globl	fft_rtc_fwd_len1890_factors_2_3_3_3_7_5_wgs_126_tpt_126_halfLds_dp_ip_CI_sbrr_dirReg
	.p2align	8
	.type	fft_rtc_fwd_len1890_factors_2_3_3_3_7_5_wgs_126_tpt_126_halfLds_dp_ip_CI_sbrr_dirReg,@function
fft_rtc_fwd_len1890_factors_2_3_3_3_7_5_wgs_126_tpt_126_halfLds_dp_ip_CI_sbrr_dirReg: ; @fft_rtc_fwd_len1890_factors_2_3_3_3_7_5_wgs_126_tpt_126_halfLds_dp_ip_CI_sbrr_dirReg
; %bb.0:
	s_clause 0x2
	s_load_b64 s[12:13], s[0:1], 0x18
	s_load_b128 s[4:7], s[0:1], 0x0
	s_load_b64 s[10:11], s[0:1], 0x50
	v_mul_u32_u24_e32 v1, 0x209, v0
	v_mov_b32_e32 v3, 0
	s_delay_alu instid0(VALU_DEP_2) | instskip(NEXT) | instid1(VALU_DEP_1)
	v_lshrrev_b32_e32 v1, 16, v1
	v_add_nc_u32_e32 v5, ttmp9, v1
	v_mov_b32_e32 v1, 0
	v_mov_b32_e32 v2, 0
	;; [unrolled: 1-line block ×3, first 2 shown]
	s_wait_kmcnt 0x0
	s_load_b64 s[8:9], s[12:13], 0x0
	v_cmp_lt_u64_e64 s2, s[6:7], 2
	s_delay_alu instid0(VALU_DEP_1)
	s_and_b32 vcc_lo, exec_lo, s2
	s_cbranch_vccnz .LBB0_8
; %bb.1:
	s_load_b64 s[2:3], s[0:1], 0x10
	v_mov_b32_e32 v1, 0
	v_mov_b32_e32 v2, 0
	s_add_nc_u64 s[14:15], s[12:13], 8
	s_mov_b64 s[16:17], 1
	s_wait_kmcnt 0x0
	s_add_nc_u64 s[18:19], s[2:3], 8
	s_mov_b32 s3, 0
.LBB0_2:                                ; =>This Inner Loop Header: Depth=1
	s_load_b64 s[20:21], s[18:19], 0x0
                                        ; implicit-def: $vgpr7_vgpr8
	s_mov_b32 s2, exec_lo
	s_wait_kmcnt 0x0
	v_or_b32_e32 v4, s21, v6
	s_delay_alu instid0(VALU_DEP_1)
	v_cmpx_ne_u64_e32 0, v[3:4]
	s_wait_alu 0xfffe
	s_xor_b32 s22, exec_lo, s2
	s_cbranch_execz .LBB0_4
; %bb.3:                                ;   in Loop: Header=BB0_2 Depth=1
	s_cvt_f32_u32 s2, s20
	s_cvt_f32_u32 s23, s21
	s_sub_nc_u64 s[26:27], 0, s[20:21]
	s_wait_alu 0xfffe
	s_delay_alu instid0(SALU_CYCLE_1) | instskip(SKIP_1) | instid1(SALU_CYCLE_2)
	s_fmamk_f32 s2, s23, 0x4f800000, s2
	s_wait_alu 0xfffe
	v_s_rcp_f32 s2, s2
	s_delay_alu instid0(TRANS32_DEP_1) | instskip(SKIP_1) | instid1(SALU_CYCLE_2)
	s_mul_f32 s2, s2, 0x5f7ffffc
	s_wait_alu 0xfffe
	s_mul_f32 s23, s2, 0x2f800000
	s_wait_alu 0xfffe
	s_delay_alu instid0(SALU_CYCLE_2) | instskip(SKIP_1) | instid1(SALU_CYCLE_2)
	s_trunc_f32 s23, s23
	s_wait_alu 0xfffe
	s_fmamk_f32 s2, s23, 0xcf800000, s2
	s_cvt_u32_f32 s25, s23
	s_wait_alu 0xfffe
	s_delay_alu instid0(SALU_CYCLE_1) | instskip(SKIP_1) | instid1(SALU_CYCLE_2)
	s_cvt_u32_f32 s24, s2
	s_wait_alu 0xfffe
	s_mul_u64 s[28:29], s[26:27], s[24:25]
	s_wait_alu 0xfffe
	s_mul_hi_u32 s31, s24, s29
	s_mul_i32 s30, s24, s29
	s_mul_hi_u32 s2, s24, s28
	s_mul_i32 s33, s25, s28
	s_wait_alu 0xfffe
	s_add_nc_u64 s[30:31], s[2:3], s[30:31]
	s_mul_hi_u32 s23, s25, s28
	s_mul_hi_u32 s34, s25, s29
	s_add_co_u32 s2, s30, s33
	s_wait_alu 0xfffe
	s_add_co_ci_u32 s2, s31, s23
	s_mul_i32 s28, s25, s29
	s_add_co_ci_u32 s29, s34, 0
	s_wait_alu 0xfffe
	s_add_nc_u64 s[28:29], s[2:3], s[28:29]
	s_wait_alu 0xfffe
	v_add_co_u32 v4, s2, s24, s28
	s_delay_alu instid0(VALU_DEP_1) | instskip(SKIP_1) | instid1(VALU_DEP_1)
	s_cmp_lg_u32 s2, 0
	s_add_co_ci_u32 s25, s25, s29
	v_readfirstlane_b32 s24, v4
	s_wait_alu 0xfffe
	s_delay_alu instid0(VALU_DEP_1)
	s_mul_u64 s[26:27], s[26:27], s[24:25]
	s_wait_alu 0xfffe
	s_mul_hi_u32 s29, s24, s27
	s_mul_i32 s28, s24, s27
	s_mul_hi_u32 s2, s24, s26
	s_mul_i32 s30, s25, s26
	s_wait_alu 0xfffe
	s_add_nc_u64 s[28:29], s[2:3], s[28:29]
	s_mul_hi_u32 s23, s25, s26
	s_mul_hi_u32 s24, s25, s27
	s_wait_alu 0xfffe
	s_add_co_u32 s2, s28, s30
	s_add_co_ci_u32 s2, s29, s23
	s_mul_i32 s26, s25, s27
	s_add_co_ci_u32 s27, s24, 0
	s_wait_alu 0xfffe
	s_add_nc_u64 s[26:27], s[2:3], s[26:27]
	s_wait_alu 0xfffe
	v_add_co_u32 v4, s2, v4, s26
	s_delay_alu instid0(VALU_DEP_1) | instskip(SKIP_1) | instid1(VALU_DEP_1)
	s_cmp_lg_u32 s2, 0
	s_add_co_ci_u32 s2, s25, s27
	v_mul_hi_u32 v13, v5, v4
	s_wait_alu 0xfffe
	v_mad_co_u64_u32 v[7:8], null, v5, s2, 0
	v_mad_co_u64_u32 v[9:10], null, v6, v4, 0
	;; [unrolled: 1-line block ×3, first 2 shown]
	s_delay_alu instid0(VALU_DEP_3) | instskip(SKIP_1) | instid1(VALU_DEP_4)
	v_add_co_u32 v4, vcc_lo, v13, v7
	s_wait_alu 0xfffd
	v_add_co_ci_u32_e32 v7, vcc_lo, 0, v8, vcc_lo
	s_delay_alu instid0(VALU_DEP_2) | instskip(SKIP_1) | instid1(VALU_DEP_2)
	v_add_co_u32 v4, vcc_lo, v4, v9
	s_wait_alu 0xfffd
	v_add_co_ci_u32_e32 v4, vcc_lo, v7, v10, vcc_lo
	s_wait_alu 0xfffd
	v_add_co_ci_u32_e32 v7, vcc_lo, 0, v12, vcc_lo
	s_delay_alu instid0(VALU_DEP_2) | instskip(SKIP_1) | instid1(VALU_DEP_2)
	v_add_co_u32 v4, vcc_lo, v4, v11
	s_wait_alu 0xfffd
	v_add_co_ci_u32_e32 v9, vcc_lo, 0, v7, vcc_lo
	s_delay_alu instid0(VALU_DEP_2) | instskip(SKIP_1) | instid1(VALU_DEP_3)
	v_mul_lo_u32 v10, s21, v4
	v_mad_co_u64_u32 v[7:8], null, s20, v4, 0
	v_mul_lo_u32 v11, s20, v9
	s_delay_alu instid0(VALU_DEP_2) | instskip(NEXT) | instid1(VALU_DEP_2)
	v_sub_co_u32 v7, vcc_lo, v5, v7
	v_add3_u32 v8, v8, v11, v10
	s_delay_alu instid0(VALU_DEP_1) | instskip(SKIP_1) | instid1(VALU_DEP_1)
	v_sub_nc_u32_e32 v10, v6, v8
	s_wait_alu 0xfffd
	v_subrev_co_ci_u32_e64 v10, s2, s21, v10, vcc_lo
	v_add_co_u32 v11, s2, v4, 2
	s_wait_alu 0xf1ff
	v_add_co_ci_u32_e64 v12, s2, 0, v9, s2
	v_sub_co_u32 v13, s2, v7, s20
	v_sub_co_ci_u32_e32 v8, vcc_lo, v6, v8, vcc_lo
	s_wait_alu 0xf1ff
	v_subrev_co_ci_u32_e64 v10, s2, 0, v10, s2
	s_delay_alu instid0(VALU_DEP_3) | instskip(NEXT) | instid1(VALU_DEP_3)
	v_cmp_le_u32_e32 vcc_lo, s20, v13
	v_cmp_eq_u32_e64 s2, s21, v8
	s_wait_alu 0xfffd
	v_cndmask_b32_e64 v13, 0, -1, vcc_lo
	v_cmp_le_u32_e32 vcc_lo, s21, v10
	s_wait_alu 0xfffd
	v_cndmask_b32_e64 v14, 0, -1, vcc_lo
	v_cmp_le_u32_e32 vcc_lo, s20, v7
	;; [unrolled: 3-line block ×3, first 2 shown]
	s_wait_alu 0xfffd
	v_cndmask_b32_e64 v15, 0, -1, vcc_lo
	v_cmp_eq_u32_e32 vcc_lo, s21, v10
	s_wait_alu 0xf1ff
	s_delay_alu instid0(VALU_DEP_2)
	v_cndmask_b32_e64 v7, v15, v7, s2
	s_wait_alu 0xfffd
	v_cndmask_b32_e32 v10, v14, v13, vcc_lo
	v_add_co_u32 v13, vcc_lo, v4, 1
	s_wait_alu 0xfffd
	v_add_co_ci_u32_e32 v14, vcc_lo, 0, v9, vcc_lo
	s_delay_alu instid0(VALU_DEP_3) | instskip(SKIP_2) | instid1(VALU_DEP_3)
	v_cmp_ne_u32_e32 vcc_lo, 0, v10
	s_wait_alu 0xfffd
	v_cndmask_b32_e32 v10, v13, v11, vcc_lo
	v_cndmask_b32_e32 v8, v14, v12, vcc_lo
	v_cmp_ne_u32_e32 vcc_lo, 0, v7
	s_wait_alu 0xfffd
	s_delay_alu instid0(VALU_DEP_2)
	v_dual_cndmask_b32 v7, v4, v10 :: v_dual_cndmask_b32 v8, v9, v8
.LBB0_4:                                ;   in Loop: Header=BB0_2 Depth=1
	s_wait_alu 0xfffe
	s_and_not1_saveexec_b32 s2, s22
	s_cbranch_execz .LBB0_6
; %bb.5:                                ;   in Loop: Header=BB0_2 Depth=1
	v_cvt_f32_u32_e32 v4, s20
	s_sub_co_i32 s22, 0, s20
	s_delay_alu instid0(VALU_DEP_1) | instskip(NEXT) | instid1(TRANS32_DEP_1)
	v_rcp_iflag_f32_e32 v4, v4
	v_mul_f32_e32 v4, 0x4f7ffffe, v4
	s_delay_alu instid0(VALU_DEP_1) | instskip(SKIP_1) | instid1(VALU_DEP_1)
	v_cvt_u32_f32_e32 v4, v4
	s_wait_alu 0xfffe
	v_mul_lo_u32 v7, s22, v4
	s_delay_alu instid0(VALU_DEP_1) | instskip(NEXT) | instid1(VALU_DEP_1)
	v_mul_hi_u32 v7, v4, v7
	v_add_nc_u32_e32 v4, v4, v7
	s_delay_alu instid0(VALU_DEP_1) | instskip(NEXT) | instid1(VALU_DEP_1)
	v_mul_hi_u32 v4, v5, v4
	v_mul_lo_u32 v7, v4, s20
	v_add_nc_u32_e32 v8, 1, v4
	s_delay_alu instid0(VALU_DEP_2) | instskip(NEXT) | instid1(VALU_DEP_1)
	v_sub_nc_u32_e32 v7, v5, v7
	v_subrev_nc_u32_e32 v9, s20, v7
	v_cmp_le_u32_e32 vcc_lo, s20, v7
	s_wait_alu 0xfffd
	s_delay_alu instid0(VALU_DEP_2) | instskip(NEXT) | instid1(VALU_DEP_1)
	v_dual_cndmask_b32 v7, v7, v9 :: v_dual_cndmask_b32 v4, v4, v8
	v_cmp_le_u32_e32 vcc_lo, s20, v7
	s_delay_alu instid0(VALU_DEP_2) | instskip(SKIP_1) | instid1(VALU_DEP_1)
	v_add_nc_u32_e32 v8, 1, v4
	s_wait_alu 0xfffd
	v_dual_cndmask_b32 v7, v4, v8 :: v_dual_mov_b32 v8, v3
.LBB0_6:                                ;   in Loop: Header=BB0_2 Depth=1
	s_wait_alu 0xfffe
	s_or_b32 exec_lo, exec_lo, s2
	s_load_b64 s[22:23], s[14:15], 0x0
	s_delay_alu instid0(VALU_DEP_1)
	v_mul_lo_u32 v4, v8, s20
	v_mul_lo_u32 v11, v7, s21
	v_mad_co_u64_u32 v[9:10], null, v7, s20, 0
	s_add_nc_u64 s[16:17], s[16:17], 1
	s_add_nc_u64 s[14:15], s[14:15], 8
	s_wait_alu 0xfffe
	v_cmp_ge_u64_e64 s2, s[16:17], s[6:7]
	s_add_nc_u64 s[18:19], s[18:19], 8
	s_delay_alu instid0(VALU_DEP_2) | instskip(NEXT) | instid1(VALU_DEP_3)
	v_add3_u32 v4, v10, v11, v4
	v_sub_co_u32 v5, vcc_lo, v5, v9
	s_wait_alu 0xfffd
	s_delay_alu instid0(VALU_DEP_2) | instskip(SKIP_3) | instid1(VALU_DEP_2)
	v_sub_co_ci_u32_e32 v4, vcc_lo, v6, v4, vcc_lo
	s_and_b32 vcc_lo, exec_lo, s2
	s_wait_kmcnt 0x0
	v_mul_lo_u32 v6, s23, v5
	v_mul_lo_u32 v4, s22, v4
	v_mad_co_u64_u32 v[1:2], null, s22, v5, v[1:2]
	s_delay_alu instid0(VALU_DEP_1)
	v_add3_u32 v2, v6, v2, v4
	s_wait_alu 0xfffe
	s_cbranch_vccnz .LBB0_9
; %bb.7:                                ;   in Loop: Header=BB0_2 Depth=1
	v_dual_mov_b32 v5, v7 :: v_dual_mov_b32 v6, v8
	s_branch .LBB0_2
.LBB0_8:
	v_dual_mov_b32 v8, v6 :: v_dual_mov_b32 v7, v5
.LBB0_9:
	s_lshl_b64 s[2:3], s[6:7], 3
	v_mul_hi_u32 v3, 0x2082083, v0
	s_wait_alu 0xfffe
	s_add_nc_u64 s[2:3], s[12:13], s[2:3]
	s_load_b64 s[0:1], s[0:1], 0x20
	s_load_b64 s[2:3], s[2:3], 0x0
                                        ; implicit-def: $vgpr103
                                        ; implicit-def: $vgpr105
                                        ; implicit-def: $vgpr67
                                        ; implicit-def: $vgpr66
                                        ; implicit-def: $vgpr107
	s_delay_alu instid0(VALU_DEP_1) | instskip(NEXT) | instid1(VALU_DEP_1)
	v_mul_u32_u24_e32 v3, 0x7e, v3
	v_sub_nc_u32_e32 v98, v0, v3
	s_delay_alu instid0(VALU_DEP_1)
	v_add_nc_u32_e32 v97, 0x7e, v98
	v_add_nc_u32_e32 v96, 0xfc, v98
	;; [unrolled: 1-line block ×4, first 2 shown]
	s_wait_kmcnt 0x0
	v_cmp_gt_u64_e32 vcc_lo, s[0:1], v[7:8]
	v_mul_lo_u32 v3, s2, v8
	v_mul_lo_u32 v4, s3, v7
	v_mad_co_u64_u32 v[0:1], null, s2, v7, v[1:2]
	v_cmp_le_u64_e64 s0, s[0:1], v[7:8]
	v_add_nc_u32_e32 v70, 0x276, v98
	v_add_nc_u32_e32 v101, 0x2f4, v98
	s_delay_alu instid0(VALU_DEP_4) | instskip(NEXT) | instid1(VALU_DEP_4)
	v_add3_u32 v1, v4, v1, v3
	s_and_saveexec_b32 s1, s0
	s_wait_alu 0xfffe
	s_xor_b32 s0, exec_lo, s1
; %bb.10:
	v_add_nc_u32_e32 v103, 0x7e, v98
	v_add_nc_u32_e32 v105, 0xfc, v98
	;; [unrolled: 1-line block ×6, first 2 shown]
; %bb.11:
	s_wait_alu 0xfffe
	s_or_saveexec_b32 s1, s0
	v_lshlrev_b64_e32 v[68:69], 4, v[0:1]
                                        ; implicit-def: $vgpr64_vgpr65
                                        ; implicit-def: $vgpr32_vgpr33
                                        ; implicit-def: $vgpr52_vgpr53
                                        ; implicit-def: $vgpr36_vgpr37
                                        ; implicit-def: $vgpr56_vgpr57
                                        ; implicit-def: $vgpr40_vgpr41
                                        ; implicit-def: $vgpr60_vgpr61
                                        ; implicit-def: $vgpr44_vgpr45
                                        ; implicit-def: $vgpr48_vgpr49
                                        ; implicit-def: $vgpr20_vgpr21
                                        ; implicit-def: $vgpr24_vgpr25
                                        ; implicit-def: $vgpr8_vgpr9
                                        ; implicit-def: $vgpr28_vgpr29
                                        ; implicit-def: $vgpr12_vgpr13
                                        ; implicit-def: $vgpr16_vgpr17
                                        ; implicit-def: $vgpr4_vgpr5
	s_wait_alu 0xfffe
	s_xor_b32 exec_lo, exec_lo, s1
	s_cbranch_execz .LBB0_15
; %bb.12:
	v_add_nc_u32_e32 v10, 0x3b1, v98
	v_mad_co_u64_u32 v[2:3], null, s8, v98, 0
	v_mad_co_u64_u32 v[6:7], null, s8, v97, 0
	s_delay_alu instid0(VALU_DEP_3) | instskip(SKIP_1) | instid1(VALU_DEP_4)
	v_mad_co_u64_u32 v[4:5], null, s8, v10, 0
	v_mad_co_u64_u32 v[12:13], null, s8, v96, 0
	v_mov_b32_e32 v0, v3
	v_add_nc_u32_e32 v38, 0x5a9, v98
	v_mad_co_u64_u32 v[36:37], null, s8, v70, 0
	v_mov_b32_e32 v1, v5
	v_mad_co_u64_u32 v[41:42], null, s8, v101, 0
	s_delay_alu instid0(VALU_DEP_4) | instskip(NEXT) | instid1(VALU_DEP_3)
	v_mad_co_u64_u32 v[34:35], null, s8, v38, 0
	v_mad_co_u64_u32 v[8:9], null, s9, v98, v[0:1]
	;; [unrolled: 1-line block ×3, first 2 shown]
	v_add_nc_u32_e32 v16, 0x42f, v98
	v_add_co_u32 v0, s0, s10, v68
	s_wait_alu 0xf1ff
	v_add_co_ci_u32_e64 v1, s0, s11, v69, s0
	v_mov_b32_e32 v3, v8
	v_mov_b32_e32 v5, v9
	v_mad_co_u64_u32 v[10:11], null, s8, v16, 0
	v_mad_co_u64_u32 v[7:8], null, s9, v97, v[7:8]
	s_delay_alu instid0(VALU_DEP_4) | instskip(NEXT) | instid1(VALU_DEP_4)
	v_lshlrev_b64_e32 v[2:3], 4, v[2:3]
	v_lshlrev_b64_e32 v[4:5], 4, v[4:5]
	s_mov_b32 s2, exec_lo
                                        ; implicit-def: $vgpr62_vgpr63
	s_delay_alu instid0(VALU_DEP_4) | instskip(NEXT) | instid1(VALU_DEP_3)
	v_dual_mov_b32 v8, v11 :: v_dual_add_nc_u32 v43, 0x627, v98
	v_add_co_u32 v2, s0, v0, v2
	v_lshlrev_b64_e32 v[6:7], 4, v[6:7]
	s_delay_alu instid0(VALU_DEP_3) | instskip(SKIP_4) | instid1(VALU_DEP_4)
	v_mad_co_u64_u32 v[8:9], null, s9, v16, v[8:9]
	v_dual_mov_b32 v9, v13 :: v_dual_add_nc_u32 v22, 0x4ad, v98
	s_wait_alu 0xf1ff
	v_add_co_ci_u32_e64 v3, s0, v1, v3, s0
	v_add_co_u32 v14, s0, v0, v4
	v_mov_b32_e32 v11, v8
	v_mad_co_u64_u32 v[18:19], null, s8, v22, 0
	v_mad_co_u64_u32 v[20:21], null, s9, v96, v[9:10]
	s_delay_alu instid0(VALU_DEP_3) | instskip(SKIP_3) | instid1(VALU_DEP_4)
	v_lshlrev_b64_e32 v[9:10], 4, v[10:11]
	s_wait_alu 0xf1ff
	v_add_co_ci_u32_e64 v15, s0, v1, v5, s0
	v_add_co_u32 v6, s0, v0, v6
	v_dual_mov_b32 v8, v19 :: v_dual_mov_b32 v13, v20
	s_wait_alu 0xf1ff
	v_add_co_ci_u32_e64 v7, s0, v1, v7, s0
	s_clause 0x1
	global_load_b128 v[2:5], v[2:3], off
	global_load_b128 v[14:17], v[14:15], off
	v_mad_co_u64_u32 v[19:20], null, s9, v22, v[8:9]
	v_mad_co_u64_u32 v[20:21], null, s8, v100, 0
	v_add_co_u32 v8, s0, v0, v9
	s_wait_alu 0xf1ff
	v_add_co_ci_u32_e64 v9, s0, v1, v10, s0
	v_lshlrev_b64_e32 v[10:11], 4, v[12:13]
	v_lshlrev_b64_e32 v[18:19], 4, v[18:19]
	v_mov_b32_e32 v12, v21
	s_delay_alu instid0(VALU_DEP_3) | instskip(NEXT) | instid1(VALU_DEP_2)
	v_add_co_u32 v22, s0, v0, v10
	v_mad_co_u64_u32 v[12:13], null, s9, v100, v[12:13]
	v_add_nc_u32_e32 v24, 0x52b, v98
	s_wait_alu 0xf1ff
	v_add_co_ci_u32_e64 v23, s0, v1, v11, s0
	v_add_co_u32 v18, s0, v0, v18
	s_wait_alu 0xf1ff
	v_add_co_ci_u32_e64 v19, s0, v1, v19, s0
	v_mov_b32_e32 v21, v12
	v_mad_co_u64_u32 v[30:31], null, s8, v24, 0
	s_delay_alu instid0(VALU_DEP_1) | instskip(NEXT) | instid1(VALU_DEP_1)
	v_mov_b32_e32 v10, v31
	v_mad_co_u64_u32 v[31:32], null, s9, v24, v[10:11]
	s_clause 0x3
	global_load_b128 v[10:13], v[6:7], off
	global_load_b128 v[26:29], v[8:9], off
	;; [unrolled: 1-line block ×4, first 2 shown]
	v_mad_co_u64_u32 v[32:33], null, s8, v99, 0
	v_lshlrev_b64_e32 v[18:19], 4, v[20:21]
	v_lshlrev_b64_e32 v[30:31], 4, v[30:31]
	s_delay_alu instid0(VALU_DEP_3) | instskip(NEXT) | instid1(VALU_DEP_3)
	v_mov_b32_e32 v20, v33
	v_add_co_u32 v18, s0, v0, v18
	s_wait_alu 0xf1ff
	s_delay_alu instid0(VALU_DEP_4) | instskip(NEXT) | instid1(VALU_DEP_3)
	v_add_co_ci_u32_e64 v19, s0, v1, v19, s0
	v_mad_co_u64_u32 v[20:21], null, s9, v99, v[20:21]
	v_mov_b32_e32 v21, v35
	v_add_co_u32 v30, s0, v0, v30
	s_wait_alu 0xf1ff
	v_add_co_ci_u32_e64 v31, s0, v1, v31, s0
	s_delay_alu instid0(VALU_DEP_4)
	v_mov_b32_e32 v33, v20
	s_wait_loadcnt 0x0
	v_mad_co_u64_u32 v[38:39], null, s9, v38, v[21:22]
	v_mad_co_u64_u32 v[39:40], null, s8, v43, 0
	s_clause 0x1
	global_load_b128 v[18:21], v[18:19], off
	global_load_b128 v[46:49], v[30:31], off
	v_lshlrev_b64_e32 v[30:31], 4, v[32:33]
	v_mov_b32_e32 v35, v38
	v_mad_co_u64_u32 v[32:33], null, s9, v70, v[37:38]
	v_dual_mov_b32 v33, v40 :: v_dual_add_nc_u32 v38, 0x6a5, v98
	s_delay_alu instid0(VALU_DEP_4) | instskip(SKIP_2) | instid1(VALU_DEP_3)
	v_add_co_u32 v30, s0, v0, v30
	s_wait_alu 0xf1ff
	v_add_co_ci_u32_e64 v31, s0, v1, v31, s0
	v_mad_co_u64_u32 v[43:44], null, s9, v43, v[33:34]
	v_mad_co_u64_u32 v[44:45], null, s8, v38, 0
	v_lshlrev_b64_e32 v[34:35], 4, v[34:35]
	v_mov_b32_e32 v33, v42
	s_delay_alu instid0(VALU_DEP_4) | instskip(NEXT) | instid1(VALU_DEP_2)
	v_dual_mov_b32 v37, v32 :: v_dual_mov_b32 v40, v43
	v_mad_co_u64_u32 v[32:33], null, s9, v101, v[33:34]
	v_mov_b32_e32 v33, v45
	v_add_co_u32 v34, s0, v0, v34
	s_wait_alu 0xf1ff
	v_add_co_ci_u32_e64 v35, s0, v1, v35, s0
	s_delay_alu instid0(VALU_DEP_4) | instskip(NEXT) | instid1(VALU_DEP_3)
	v_mov_b32_e32 v42, v32
	v_mad_co_u64_u32 v[50:51], null, s9, v38, v[33:34]
	v_lshlrev_b64_e32 v[36:37], 4, v[36:37]
	v_lshlrev_b64_e32 v[38:39], 4, v[39:40]
	s_delay_alu instid0(VALU_DEP_2) | instskip(NEXT) | instid1(VALU_DEP_4)
	v_add_co_u32 v32, s0, v0, v36
	v_mov_b32_e32 v45, v50
	s_wait_alu 0xf1ff
	s_delay_alu instid0(VALU_DEP_4)
	v_add_co_ci_u32_e64 v33, s0, v1, v37, s0
	v_lshlrev_b64_e32 v[36:37], 4, v[41:42]
	v_add_co_u32 v50, s0, v0, v38
	s_wait_alu 0xf1ff
	v_add_co_ci_u32_e64 v51, s0, v1, v39, s0
	v_lshlrev_b64_e32 v[38:39], 4, v[44:45]
	s_delay_alu instid0(VALU_DEP_4) | instskip(SKIP_2) | instid1(VALU_DEP_3)
	v_add_co_u32 v36, s0, v0, v36
	s_wait_alu 0xf1ff
	v_add_co_ci_u32_e64 v37, s0, v1, v37, s0
	v_add_co_u32 v52, s0, v0, v38
	s_wait_alu 0xf1ff
	v_add_co_ci_u32_e64 v53, s0, v1, v39, s0
	s_clause 0x5
	global_load_b128 v[42:45], v[30:31], off
	global_load_b128 v[58:61], v[34:35], off
	global_load_b128 v[38:41], v[32:33], off
	global_load_b128 v[54:57], v[50:51], off
	global_load_b128 v[34:37], v[36:37], off
	global_load_b128 v[50:53], v[52:53], off
                                        ; implicit-def: $vgpr30_vgpr31
	v_cmpx_gt_u32_e32 63, v98
	s_cbranch_execz .LBB0_14
; %bb.13:
	v_add_nc_u32_e32 v62, 0x372, v98
	v_add_nc_u32_e32 v64, 0x723, v98
	s_delay_alu instid0(VALU_DEP_2) | instskip(NEXT) | instid1(VALU_DEP_2)
	v_mad_co_u64_u32 v[30:31], null, s8, v62, 0
	v_mad_co_u64_u32 v[32:33], null, s8, v64, 0
	s_delay_alu instid0(VALU_DEP_1) | instskip(NEXT) | instid1(VALU_DEP_1)
	v_mad_co_u64_u32 v[62:63], null, s9, v62, v[31:32]
	v_mov_b32_e32 v31, v62
	s_wait_loadcnt 0x1
	s_delay_alu instid0(VALU_DEP_3) | instskip(NEXT) | instid1(VALU_DEP_2)
	v_mad_co_u64_u32 v[63:64], null, s9, v64, v[33:34]
	v_lshlrev_b64_e32 v[30:31], 4, v[30:31]
	s_delay_alu instid0(VALU_DEP_2) | instskip(NEXT) | instid1(VALU_DEP_2)
	v_mov_b32_e32 v33, v63
	v_add_co_u32 v30, s0, v0, v30
	s_wait_alu 0xf1ff
	s_delay_alu instid0(VALU_DEP_3) | instskip(NEXT) | instid1(VALU_DEP_3)
	v_add_co_ci_u32_e64 v31, s0, v1, v31, s0
	v_lshlrev_b64_e32 v[32:33], 4, v[32:33]
	s_delay_alu instid0(VALU_DEP_1) | instskip(SKIP_1) | instid1(VALU_DEP_2)
	v_add_co_u32 v0, s0, v0, v32
	s_wait_alu 0xf1ff
	v_add_co_ci_u32_e64 v1, s0, v1, v33, s0
	s_clause 0x1
	global_load_b128 v[30:33], v[30:31], off
	global_load_b128 v[62:65], v[0:1], off
.LBB0_14:
	s_wait_alu 0xfffe
	s_or_b32 exec_lo, exec_lo, s2
	v_dual_mov_b32 v107, v101 :: v_dual_mov_b32 v66, v99
	v_mov_b32_e32 v67, v100
	v_mov_b32_e32 v105, v96
	;; [unrolled: 1-line block ×3, first 2 shown]
.LBB0_15:
	s_or_b32 exec_lo, exec_lo, s1
	v_add_f64_e64 v[73:74], v[2:3], -v[14:15]
	v_add_f64_e64 v[81:82], v[10:11], -v[26:27]
	;; [unrolled: 1-line block ×3, first 2 shown]
	s_wait_loadcnt 0x6
	v_add_f64_e64 v[89:90], v[18:19], -v[46:47]
	s_wait_loadcnt 0x4
	v_add_f64_e64 v[93:94], v[42:43], -v[58:59]
	;; [unrolled: 2-line block ×4, first 2 shown]
	v_add_nc_u32_e32 v102, 0x372, v98
	v_lshl_add_u32 v14, v98, 4, 0
	v_lshl_add_u32 v76, v105, 4, 0
	;; [unrolled: 1-line block ×4, first 2 shown]
	v_cmp_gt_u32_e64 s0, 63, v98
	v_fma_f64 v[71:72], v[2:3], 2.0, -v[73:74]
	v_add_f64_e64 v[2:3], v[30:31], -v[62:63]
	v_fma_f64 v[79:80], v[10:11], 2.0, -v[81:82]
	v_fma_f64 v[83:84], v[6:7], 2.0, -v[85:86]
	;; [unrolled: 1-line block ×6, first 2 shown]
	v_lshl_add_u32 v18, v103, 4, 0
	v_lshl_add_u32 v19, v70, 4, 0
	;; [unrolled: 1-line block ×4, first 2 shown]
	ds_store_b128 v14, v[71:74]
	ds_store_b128 v18, v[79:82]
	ds_store_b128 v76, v[83:86]
	ds_store_b128 v77, v[87:90]
	ds_store_b128 v78, v[91:94]
	ds_store_b128 v19, v[108:111]
	ds_store_b128 v11, v[112:115]
	s_and_saveexec_b32 s1, s0
	s_cbranch_execz .LBB0_17
; %bb.16:
	v_fma_f64 v[0:1], v[30:31], 2.0, -v[2:3]
	ds_store_b128 v10, v[0:3]
.LBB0_17:
	s_wait_alu 0xfffe
	s_or_b32 exec_lo, exec_lo, s1
	v_add_f64_e64 v[26:27], v[4:5], -v[16:17]
	v_add_f64_e64 v[30:31], v[12:13], -v[28:29]
	;; [unrolled: 1-line block ×8, first 2 shown]
	v_lshlrev_b32_e32 v0, 3, v98
	v_lshlrev_b32_e32 v15, 3, v70
	;; [unrolled: 1-line block ×6, first 2 shown]
	v_sub_nc_u32_e32 v104, v14, v0
	v_sub_nc_u32_e32 v17, v19, v15
	global_wb scope:SCOPE_SE
	s_wait_dscnt 0x0
	s_barrier_signal -1
	s_barrier_wait -1
	global_inv scope:SCOPE_SE
	ds_load_b64 v[0:1], v104
	v_add_nc_u32_e32 v74, 0x2400, v104
	v_add_nc_u32_e32 v73, 0x1400, v104
	;; [unrolled: 1-line block ×4, first 2 shown]
	v_sub_nc_u32_e32 v79, 0, v75
	v_sub_nc_u32_e32 v81, 0, v80
	v_fma_f64 v[24:25], v[4:5], 2.0, -v[26:27]
	v_fma_f64 v[28:29], v[12:13], 2.0, -v[30:31]
	;; [unrolled: 1-line block ×7, first 2 shown]
	v_sub_nc_u32_e32 v4, v18, v16
	v_sub_nc_u32_e32 v5, v76, v70
	;; [unrolled: 1-line block ×5, first 2 shown]
	ds_load_b64 v[50:51], v4
	ds_load_b64 v[56:57], v5
	;; [unrolled: 1-line block ×5, first 2 shown]
	ds_load_b64 v[62:63], v104 offset:14112
	ds_load_2addr_b64 v[46:49], v74 offset0:108 offset1:234
	ds_load_2addr_b64 v[42:45], v73 offset0:116 offset1:242
	;; [unrolled: 1-line block ×4, first 2 shown]
	v_sub_nc_u32_e32 v17, 0, v15
	v_sub_nc_u32_e32 v70, 0, v70
	global_wb scope:SCOPE_SE
	s_wait_dscnt 0x0
	s_barrier_signal -1
	s_barrier_wait -1
	global_inv scope:SCOPE_SE
	ds_store_b128 v14, v[24:27]
	ds_store_b128 v18, v[28:31]
	;; [unrolled: 1-line block ×7, first 2 shown]
	s_and_saveexec_b32 s1, s0
	s_cbranch_execz .LBB0_19
; %bb.18:
	v_fma_f64 v[4:5], v[32:33], 2.0, -v[6:7]
	ds_store_b128 v10, v[4:7]
.LBB0_19:
	s_wait_alu 0xfffe
	s_or_b32 exec_lo, exec_lo, s1
	v_and_b32_e32 v80, 1, v98
	global_wb scope:SCOPE_SE
	s_wait_dscnt 0x0
	s_barrier_signal -1
	s_barrier_wait -1
	global_inv scope:SCOPE_SE
	v_lshlrev_b32_e32 v4, 5, v80
	v_add_nc_u32_e32 v75, v19, v17
	v_add_nc_u32_e32 v106, v18, v16
	;; [unrolled: 1-line block ×4, first 2 shown]
	s_clause 0x1
	global_load_b128 v[8:11], v4, s[4:5] offset:16
	global_load_b128 v[12:15], v4, s[4:5]
	ds_load_2addr_b64 v[20:23], v74 offset0:108 offset1:234
	ds_load_b64 v[58:59], v75
	ds_load_2addr_b64 v[28:31], v73 offset0:116 offset1:242
	ds_load_2addr_b64 v[24:27], v72 offset0:104 offset1:230
	;; [unrolled: 1-line block ×3, first 2 shown]
	ds_load_b64 v[4:5], v106
	ds_load_b64 v[32:33], v104 offset:14112
	ds_load_b64 v[60:61], v104
	v_add_nc_u32_e32 v70, v78, v81
	s_mov_b32 s2, 0xe8584caa
	s_mov_b32 s3, 0x3febb67a
	;; [unrolled: 1-line block ×3, first 2 shown]
	s_wait_alu 0xfffe
	s_mov_b32 s6, s2
	v_cmp_gt_u32_e64 s0, 18, v98
	s_wait_loadcnt_dscnt 0x107
	v_mul_f64_e32 v[82:83], v[20:21], v[10:11]
	s_wait_loadcnt_dscnt 0x6
	v_mul_f64_e32 v[84:85], v[58:59], v[14:15]
	s_wait_dscnt 0x3
	v_mul_f64_e32 v[94:95], v[16:17], v[14:15]
	v_mul_f64_e32 v[110:111], v[26:27], v[10:11]
	;; [unrolled: 1-line block ×3, first 2 shown]
	s_wait_dscnt 0x1
	v_mul_f64_e32 v[114:115], v[32:33], v[10:11]
	v_mul_f64_e32 v[76:77], v[64:65], v[14:15]
	;; [unrolled: 1-line block ×15, first 2 shown]
	v_fma_f64 v[46:47], v[46:47], v[8:9], -v[82:83]
	v_fma_f64 v[81:82], v[64:65], v[12:13], -v[84:85]
	;; [unrolled: 1-line block ×6, first 2 shown]
	v_fma_f64 v[58:59], v[58:59], v[12:13], v[76:77]
	v_fma_f64 v[20:21], v[20:21], v[8:9], v[78:79]
	v_fma_f64 v[44:45], v[44:45], v[12:13], -v[90:91]
	v_fma_f64 v[38:39], v[38:39], v[8:9], -v[92:93]
	;; [unrolled: 1-line block ×4, first 2 shown]
	v_fma_f64 v[28:29], v[28:29], v[12:13], v[116:117]
	v_fma_f64 v[22:23], v[22:23], v[8:9], v[118:119]
	;; [unrolled: 1-line block ×8, first 2 shown]
	v_lshrrev_b32_e32 v65, 1, v98
	v_lshrrev_b32_e32 v91, 1, v103
	v_lshrrev_b32_e32 v92, 1, v105
	v_lshrrev_b32_e32 v93, 1, v67
	v_lshrrev_b32_e32 v94, 1, v66
	v_mul_u32_u24_e32 v65, 6, v65
	v_mul_lo_u32 v95, v91, 6
	v_mul_lo_u32 v112, v92, 6
	;; [unrolled: 1-line block ×4, first 2 shown]
	v_or_b32_e32 v116, v65, v80
	ds_load_b64 v[85:86], v108
	ds_load_b64 v[87:88], v109
	;; [unrolled: 1-line block ×3, first 2 shown]
	v_and_b32_e32 v62, 0xffff, v105
	v_and_b32_e32 v111, 0xff, v98
	v_or_b32_e32 v95, v95, v80
	v_or_b32_e32 v132, v112, v80
	;; [unrolled: 1-line block ×4, first 2 shown]
	v_lshl_add_u32 v136, v116, 3, 0
	v_add_f64_e32 v[10:11], v[81:82], v[46:47]
	v_and_b32_e32 v110, 0xff, v103
	v_add_f64_e32 v[32:33], v[34:35], v[40:41]
	v_and_b32_e32 v63, 0xffff, v67
	;; [unrolled: 2-line block ×3, first 2 shown]
	v_add_f64_e32 v[93:94], v[58:59], v[20:21]
	v_mul_u32_u24_e32 v113, 0xaaab, v62
	v_add_f64_e32 v[18:19], v[44:45], v[38:39]
	v_mul_lo_u16 v76, 0xab, v111
	v_add_f64_e32 v[14:15], v[42:43], v[48:49]
	v_mul_lo_u16 v77, 0xab, v110
	v_add_f64_e32 v[116:117], v[28:29], v[22:23]
	v_mul_u32_u24_e32 v114, 0xaaab, v63
	v_add_f64_e32 v[120:121], v[30:31], v[24:25]
	v_mul_u32_u24_e32 v115, 0xaaab, v64
	v_add_f64_e32 v[124:125], v[16:17], v[26:27]
	v_lshrrev_b32_e32 v65, 18, v113
	v_add_f64_e32 v[128:129], v[12:13], v[8:9]
	v_add_f64_e32 v[112:113], v[0:1], v[81:82]
	;; [unrolled: 1-line block ×4, first 2 shown]
	v_add_f64_e64 v[130:131], v[58:59], -v[20:21]
	s_wait_dscnt 0x3
	v_add_f64_e32 v[58:59], v[60:61], v[58:59]
	v_add_f64_e32 v[118:119], v[56:57], v[44:45]
	v_lshrrev_b16 v79, 10, v76
	v_lshrrev_b16 v78, 10, v77
	v_lshrrev_b32_e32 v76, 18, v114
	v_lshrrev_b32_e32 v77, 18, v115
	v_add_f64_e32 v[114:115], v[50:51], v[42:43]
	v_add_f64_e64 v[42:43], v[42:43], -v[48:49]
	v_add_f64_e64 v[44:45], v[44:45], -v[38:39]
	v_add_f64_e64 v[34:35], v[34:35], -v[40:41]
	v_add_f64_e64 v[36:37], v[36:37], -v[83:84]
	v_mul_lo_u16 v134, v79, 6
	v_mul_lo_u16 v135, v78, 6
	;; [unrolled: 1-line block ×4, first 2 shown]
	v_fma_f64 v[0:1], v[10:11], -0.5, v[0:1]
	v_add_f64_e64 v[10:11], v[28:29], -v[22:23]
	v_fma_f64 v[32:33], v[32:33], -0.5, v[54:55]
	v_add_f64_e64 v[54:55], v[12:13], -v[8:9]
	;; [unrolled: 2-line block ×3, first 2 shown]
	s_wait_dscnt 0x0
	v_add_f64_e32 v[12:13], v[89:90], v[12:13]
	v_fma_f64 v[93:94], v[93:94], -0.5, v[60:61]
	v_fma_f64 v[18:19], v[18:19], -0.5, v[56:57]
	v_add_f64_e64 v[56:57], v[16:17], -v[26:27]
	v_add_f64_e32 v[16:17], v[87:88], v[16:17]
	v_fma_f64 v[14:15], v[14:15], -0.5, v[50:51]
	v_add_f64_e32 v[28:29], v[4:5], v[28:29]
	v_fma_f64 v[4:5], v[116:117], -0.5, v[4:5]
	v_add_f64_e64 v[50:51], v[30:31], -v[24:25]
	v_add_f64_e32 v[30:31], v[85:86], v[30:31]
	v_fma_f64 v[85:86], v[120:121], -0.5, v[85:86]
	v_fma_f64 v[87:88], v[124:125], -0.5, v[87:88]
	;; [unrolled: 1-line block ×3, first 2 shown]
	v_add_f64_e32 v[46:47], v[112:113], v[46:47]
	v_add_f64_e32 v[40:41], v[122:123], v[40:41]
	;; [unrolled: 1-line block ×3, first 2 shown]
	v_mul_lo_u16 v139, v77, 6
	v_add_f64_e32 v[20:21], v[58:59], v[20:21]
	v_add_f64_e32 v[38:39], v[118:119], v[38:39]
	v_lshl_add_u32 v140, v80, 3, 0
	v_sub_nc_u16 v80, v98, v134
	v_sub_nc_u16 v134, v103, v135
	;; [unrolled: 1-line block ×3, first 2 shown]
	v_add_f64_e32 v[48:49], v[114:115], v[48:49]
	v_lshl_add_u32 v95, v95, 3, 0
	v_and_b32_e32 v60, 0xff, v80
	v_and_b32_e32 v61, 0xff, v134
	;; [unrolled: 1-line block ×3, first 2 shown]
	v_lshl_add_u32 v132, v132, 3, 0
	global_wb scope:SCOPE_SE
	v_lshlrev_b32_e32 v118, 5, v60
	v_lshlrev_b32_e32 v119, 5, v61
	v_fma_f64 v[112:113], v[130:131], s[2:3], v[0:1]
	s_wait_alu 0xfffe
	v_fma_f64 v[0:1], v[130:131], s[6:7], v[0:1]
	s_barrier_signal -1
	s_barrier_wait -1
	global_inv scope:SCOPE_SE
	v_lshl_add_u32 v133, v133, 3, 0
	v_add_f64_e32 v[8:9], v[12:13], v[8:9]
	v_fma_f64 v[12:13], v[91:92], s[6:7], v[93:94]
	v_lshlrev_b32_e32 v122, 5, v82
	v_mul_u32_u24_e32 v64, 0xe38f, v64
	v_add_f64_e32 v[16:17], v[16:17], v[26:27]
	v_fma_f64 v[26:27], v[91:92], s[2:3], v[93:94]
	v_fma_f64 v[114:115], v[10:11], s[2:3], v[14:15]
	v_add_f64_e32 v[22:23], v[28:29], v[22:23]
	v_fma_f64 v[28:29], v[42:43], s[6:7], v[4:5]
	v_fma_f64 v[10:11], v[10:11], s[6:7], v[14:15]
	;; [unrolled: 3-line block ×3, first 2 shown]
	v_fma_f64 v[42:43], v[44:45], s[6:7], v[85:86]
	v_fma_f64 v[18:19], v[50:51], s[6:7], v[18:19]
	;; [unrolled: 1-line block ×11, first 2 shown]
	v_sub_nc_u16 v54, v105, v137
	v_sub_nc_u16 v55, v67, v138
	v_mul_u32_u24_e32 v62, 0xe38f, v62
	v_mul_u32_u24_e32 v63, 0xe38f, v63
	v_lshlrev_b32_e32 v82, 3, v82
	v_and_b32_e32 v80, 0xffff, v54
	v_and_b32_e32 v81, 0xffff, v55
	ds_store_2addr_b64 v136, v[46:47], v[112:113] offset1:2
	ds_store_b64 v136, v[0:1] offset:32
	ds_store_2addr_b64 v95, v[48:49], v[114:115] offset1:2
	ds_store_b64 v95, v[10:11] offset:32
	;; [unrolled: 2-line block ×5, first 2 shown]
	v_lshlrev_b32_e32 v120, 5, v80
	v_lshlrev_b32_e32 v121, 5, v81
	global_wb scope:SCOPE_SE
	s_wait_dscnt 0x0
	s_barrier_signal -1
	s_barrier_wait -1
	global_inv scope:SCOPE_SE
	ds_load_b64 v[4:5], v104
	ds_load_2addr_b64 v[83:86], v74 offset0:108 offset1:234
	ds_load_2addr_b64 v[87:90], v73 offset0:116 offset1:242
	;; [unrolled: 1-line block ×4, first 2 shown]
	ds_load_b64 v[54:55], v108
	ds_load_b64 v[52:53], v109
	;; [unrolled: 1-line block ×5, first 2 shown]
	ds_load_b64 v[130:131], v104 offset:14112
	global_wb scope:SCOPE_SE
	s_wait_dscnt 0x0
	s_barrier_signal -1
	s_barrier_wait -1
	global_inv scope:SCOPE_SE
	ds_store_2addr_b64 v136, v[20:21], v[12:13] offset1:2
	ds_store_b64 v136, v[26:27] offset:32
	ds_store_2addr_b64 v95, v[22:23], v[28:29] offset1:2
	ds_store_b64 v95, v[30:31] offset:32
	;; [unrolled: 2-line block ×5, first 2 shown]
	global_wb scope:SCOPE_SE
	s_wait_dscnt 0x0
	s_barrier_signal -1
	s_barrier_wait -1
	global_inv scope:SCOPE_SE
	s_clause 0x9
	global_load_b128 v[16:19], v118, s[4:5] offset:80
	global_load_b128 v[8:11], v118, s[4:5] offset:64
	;; [unrolled: 1-line block ×10, first 2 shown]
	ds_load_2addr_b64 v[48:51], v74 offset0:108 offset1:234
	ds_load_b64 v[132:133], v75
	ds_load_2addr_b64 v[116:119], v73 offset0:116 offset1:242
	ds_load_2addr_b64 v[120:123], v72 offset0:104 offset1:230
	;; [unrolled: 1-line block ×3, first 2 shown]
	ds_load_b64 v[58:59], v106
	ds_load_b64 v[134:135], v104 offset:14112
	ds_load_b64 v[136:137], v104
	v_mul_lo_u16 v95, v111, 57
	s_wait_loadcnt_dscnt 0x907
	v_mul_f64_e32 v[138:139], v[48:49], v[18:19]
	s_wait_loadcnt_dscnt 0x806
	v_mul_f64_e32 v[140:141], v[132:133], v[10:11]
	s_wait_loadcnt 0x7
	v_mul_f64_e32 v[142:143], v[50:51], v[34:35]
	s_wait_loadcnt_dscnt 0x605
	v_mul_f64_e32 v[144:145], v[116:117], v[22:23]
	s_wait_loadcnt 0x5
	;; [unrolled: 4-line block ×4, first 2 shown]
	v_mul_f64_e32 v[154:155], v[126:127], v[46:47]
	s_wait_loadcnt_dscnt 0x1
	v_mul_f64_e32 v[156:157], v[134:135], v[42:43]
	v_mul_f64_e32 v[18:19], v[83:84], v[18:19]
	;; [unrolled: 1-line block ×11, first 2 shown]
	v_fma_f64 v[83:84], v[83:84], v[16:17], -v[138:139]
	v_fma_f64 v[128:129], v[128:129], v[8:9], -v[140:141]
	;; [unrolled: 1-line block ×10, first 2 shown]
	v_fma_f64 v[16:17], v[48:49], v[16:17], v[18:19]
	v_fma_f64 v[8:9], v[132:133], v[8:9], v[10:11]
	v_fma_f64 v[18:19], v[50:51], v[32:33], v[34:35]
	v_fma_f64 v[10:11], v[116:117], v[20:21], v[22:23]
	v_fma_f64 v[20:21], v[118:119], v[28:29], v[30:31]
	v_fma_f64 v[22:23], v[120:121], v[24:25], v[26:27]
	v_fma_f64 v[24:25], v[124:125], v[36:37], v[38:39]
	v_fma_f64 v[12:13], v[122:123], v[12:13], v[14:15]
	v_fma_f64 v[14:15], v[126:127], v[44:45], v[46:47]
	v_fma_f64 v[26:27], v[134:135], v[40:41], v[42:43]
	v_mul_lo_u16 v138, v110, 57
	v_lshrrev_b16 v146, 10, v95
	v_lshrrev_b32_e32 v150, 20, v64
	v_mul_u32_u24_e32 v95, 0x90, v65
	v_mul_u32_u24_e32 v120, 0x90, v76
	;; [unrolled: 1-line block ×3, first 2 shown]
	v_and_b32_e32 v38, 0xffff, v79
	v_and_b32_e32 v41, 0xffff, v78
	v_lshrrev_b16 v147, 10, v138
	v_lshrrev_b32_e32 v148, 20, v62
	v_lshrrev_b32_e32 v149, 20, v63
	v_mul_lo_u16 v39, v146, 18
	v_mul_u32_u24_e32 v122, 0x90, v38
	v_mul_lo_u16 v40, v147, 18
	v_mul_lo_u16 v42, v148, 18
	;; [unrolled: 1-line block ×3, first 2 shown]
	v_sub_nc_u16 v39, v98, v39
	v_mul_u32_u24_e32 v123, 0x90, v41
	v_sub_nc_u16 v40, v103, v40
	v_add_f64_e32 v[28:29], v[128:129], v[83:84]
	v_sub_nc_u16 v124, v105, v42
	v_add_f64_e32 v[30:31], v[87:88], v[85:86]
	v_sub_nc_u16 v125, v67, v43
	v_add_f64_e32 v[32:33], v[89:90], v[91:92]
	v_and_b32_e32 v151, 0xff, v39
	v_add_f64_e32 v[34:35], v[112:113], v[93:94]
	v_and_b32_e32 v152, 0xff, v40
	v_add_f64_e32 v[36:37], v[114:115], v[130:131]
	ds_load_b64 v[38:39], v108
	ds_load_b64 v[40:41], v109
	;; [unrolled: 1-line block ×3, first 2 shown]
	v_add_f64_e32 v[46:47], v[8:9], v[16:17]
	v_mul_lo_u16 v44, v150, 18
	v_add_f64_e32 v[50:51], v[10:11], v[18:19]
	v_add_f64_e32 v[48:49], v[56:57], v[87:88]
	;; [unrolled: 1-line block ×5, first 2 shown]
	v_sub_nc_u16 v126, v66, v44
	v_add_f64_e32 v[78:79], v[14:15], v[26:27]
	v_add_f64_e32 v[44:45], v[4:5], v[128:129]
	;; [unrolled: 1-line block ×4, first 2 shown]
	v_add_f64_e64 v[118:119], v[8:9], -v[16:17]
	s_wait_dscnt 0x3
	v_add_f64_e32 v[8:9], v[136:137], v[8:9]
	v_and_b32_e32 v153, 0xffff, v124
	v_and_b32_e32 v154, 0xffff, v125
	v_lshlrev_b32_e32 v124, 3, v60
	v_lshlrev_b32_e32 v125, 3, v61
	v_add_f64_e64 v[60:61], v[87:88], -v[85:86]
	v_and_b32_e32 v155, 0xffff, v126
	v_lshlrev_b32_e32 v126, 3, v80
	v_lshlrev_b32_e32 v127, 3, v81
	v_add_f64_e64 v[80:81], v[89:90], -v[91:92]
	v_add_f64_e64 v[87:88], v[112:113], -v[93:94]
	;; [unrolled: 1-line block ×3, first 2 shown]
	v_add3_u32 v115, 0, v121, v82
	v_lshlrev_b32_e32 v132, 5, v151
	v_add3_u32 v112, 0, v122, v124
	v_fma_f64 v[4:5], v[28:29], -0.5, v[4:5]
	v_add_f64_e64 v[28:29], v[10:11], -v[18:19]
	v_fma_f64 v[30:31], v[30:31], -0.5, v[56:57]
	v_add_f64_e64 v[56:57], v[20:21], -v[22:23]
	;; [unrolled: 2-line block ×5, first 2 shown]
	v_fma_f64 v[46:47], v[46:47], -0.5, v[136:137]
	v_add_f64_e32 v[10:11], v[58:59], v[10:11]
	v_fma_f64 v[50:51], v[50:51], -0.5, v[58:59]
	s_wait_dscnt 0x2
	v_add_f64_e32 v[20:21], v[38:39], v[20:21]
	v_fma_f64 v[38:39], v[64:65], -0.5, v[38:39]
	s_wait_dscnt 0x1
	;; [unrolled: 3-line block ×3, first 2 shown]
	v_add_f64_e32 v[14:15], v[42:43], v[14:15]
	v_fma_f64 v[42:43], v[78:79], -0.5, v[42:43]
	v_add_f64_e32 v[44:45], v[44:45], v[83:84]
	v_add_f64_e32 v[48:49], v[48:49], v[85:86]
	;; [unrolled: 1-line block ×5, first 2 shown]
	v_lshlrev_b32_e32 v91, 5, v152
	v_add3_u32 v113, 0, v123, v125
	v_lshlrev_b32_e32 v92, 5, v153
	v_lshlrev_b32_e32 v93, 5, v154
	;; [unrolled: 1-line block ×3, first 2 shown]
	v_add3_u32 v95, 0, v95, v126
	v_add3_u32 v114, 0, v120, v127
	global_wb scope:SCOPE_SE
	s_barrier_signal -1
	s_barrier_wait -1
	global_inv scope:SCOPE_SE
	v_fma_f64 v[66:67], v[118:119], s[2:3], v[4:5]
	v_fma_f64 v[4:5], v[118:119], s[6:7], v[4:5]
	v_fma_f64 v[76:77], v[28:29], s[2:3], v[30:31]
	v_fma_f64 v[28:29], v[28:29], s[6:7], v[30:31]
	v_fma_f64 v[30:31], v[56:57], s[2:3], v[32:33]
	v_fma_f64 v[32:33], v[56:57], s[6:7], v[32:33]
	v_fma_f64 v[56:57], v[54:55], s[2:3], v[34:35]
	v_fma_f64 v[34:35], v[54:55], s[6:7], v[34:35]
	v_fma_f64 v[54:55], v[52:53], s[2:3], v[0:1]
	v_fma_f64 v[0:1], v[52:53], s[6:7], v[0:1]
	v_add_f64_e32 v[52:53], v[8:9], v[16:17]
	v_fma_f64 v[84:85], v[36:37], s[6:7], v[46:47]
	v_fma_f64 v[36:37], v[36:37], s[2:3], v[46:47]
	v_add_f64_e32 v[78:79], v[10:11], v[18:19]
	v_fma_f64 v[46:47], v[60:61], s[6:7], v[50:51]
	v_fma_f64 v[50:51], v[60:61], s[2:3], v[50:51]
	;; [unrolled: 3-line block ×5, first 2 shown]
	ds_store_2addr_b64 v112, v[44:45], v[66:67] offset1:6
	ds_store_b64 v112, v[4:5] offset:96
	ds_store_2addr_b64 v113, v[48:49], v[76:77] offset1:6
	ds_store_b64 v113, v[28:29] offset:96
	ds_store_2addr_b64 v95, v[58:59], v[30:31] offset1:6
	ds_store_b64 v95, v[32:33] offset:96
	ds_store_2addr_b64 v114, v[62:63], v[56:57] offset1:6
	ds_store_b64 v114, v[34:35] offset:96
	ds_store_2addr_b64 v115, v[64:65], v[54:55] offset1:6
	ds_store_b64 v115, v[0:1] offset:96
	global_wb scope:SCOPE_SE
	s_wait_dscnt 0x0
	s_barrier_signal -1
	s_barrier_wait -1
	global_inv scope:SCOPE_SE
	ds_load_b64 v[0:1], v104
	ds_load_2addr_b64 v[8:11], v74 offset0:108 offset1:234
	ds_load_2addr_b64 v[12:15], v73 offset0:116 offset1:242
	;; [unrolled: 1-line block ×4, first 2 shown]
	ds_load_b64 v[116:117], v108
	ds_load_b64 v[118:119], v109
	;; [unrolled: 1-line block ×5, first 2 shown]
	ds_load_b64 v[124:125], v104 offset:14112
	global_wb scope:SCOPE_SE
	s_wait_dscnt 0x0
	s_barrier_signal -1
	s_barrier_wait -1
	global_inv scope:SCOPE_SE
	ds_store_2addr_b64 v112, v[52:53], v[84:85] offset1:6
	ds_store_b64 v112, v[36:37] offset:96
	ds_store_2addr_b64 v113, v[78:79], v[46:47] offset1:6
	ds_store_b64 v113, v[50:51] offset:96
	;; [unrolled: 2-line block ×5, first 2 shown]
	global_wb scope:SCOPE_SE
	s_wait_dscnt 0x0
	s_barrier_signal -1
	s_barrier_wait -1
	global_inv scope:SCOPE_SE
	s_clause 0x9
	global_load_b128 v[26:29], v132, s[4:5] offset:272
	global_load_b128 v[32:35], v132, s[4:5] offset:256
	global_load_b128 v[40:43], v91, s[4:5] offset:272
	global_load_b128 v[44:47], v91, s[4:5] offset:256
	global_load_b128 v[54:57], v92, s[4:5] offset:256
	global_load_b128 v[60:63], v92, s[4:5] offset:272
	global_load_b128 v[64:67], v93, s[4:5] offset:272
	global_load_b128 v[76:79], v93, s[4:5] offset:256
	global_load_b128 v[88:91], v94, s[4:5] offset:256
	global_load_b128 v[92:95], v94, s[4:5] offset:272
	ds_load_2addr_b64 v[80:83], v74 offset0:108 offset1:234
	ds_load_b64 v[126:127], v75
	ds_load_2addr_b64 v[84:87], v73 offset0:116 offset1:242
	ds_load_2addr_b64 v[72:75], v72 offset0:104 offset1:230
	;; [unrolled: 1-line block ×3, first 2 shown]
	ds_load_b64 v[4:5], v106
	ds_load_b64 v[128:129], v104 offset:14112
	ds_load_b64 v[24:25], v104
	v_mul_u32_u24_e32 v71, 0x1b0, v150
	s_wait_loadcnt_dscnt 0x907
	v_mul_f64_e32 v[36:37], v[80:81], v[28:29]
	s_wait_loadcnt_dscnt 0x806
	v_mul_f64_e32 v[38:39], v[126:127], v[34:35]
	s_wait_loadcnt 0x7
	v_mul_f64_e32 v[48:49], v[82:83], v[42:43]
	s_wait_loadcnt_dscnt 0x605
	v_mul_f64_e32 v[50:51], v[84:85], v[46:47]
	s_wait_loadcnt 0x5
	;; [unrolled: 4-line block ×4, first 2 shown]
	v_mul_f64_e32 v[136:137], v[114:115], v[90:91]
	s_wait_loadcnt_dscnt 0x1
	v_mul_f64_e32 v[138:139], v[128:129], v[94:95]
	v_mul_f64_e32 v[140:141], v[8:9], v[28:29]
	;; [unrolled: 1-line block ×11, first 2 shown]
	v_fma_f64 v[56:57], v[8:9], v[26:27], -v[36:37]
	v_fma_f64 v[58:59], v[30:31], v[32:33], -v[38:39]
	;; [unrolled: 1-line block ×10, first 2 shown]
	v_fma_f64 v[26:27], v[80:81], v[26:27], v[140:141]
	v_fma_f64 v[80:81], v[126:127], v[32:33], v[142:143]
	;; [unrolled: 1-line block ×10, first 2 shown]
	v_lshlrev_b32_e32 v72, 3, v151
	v_lshlrev_b32_e32 v73, 3, v152
	;; [unrolled: 1-line block ×3, first 2 shown]
	v_add_nc_u32_e32 v112, 0x800, v104
	v_lshlrev_b32_e32 v75, 3, v154
	v_lshlrev_b32_e32 v90, 3, v155
	v_add_nc_u32_e32 v113, 0x1000, v104
	v_add_nc_u32_e32 v114, 0x1800, v104
	v_add_nc_u32_e32 v115, 0x2000, v104
	v_add_f64_e32 v[8:9], v[58:59], v[56:57]
	v_add_f64_e32 v[18:19], v[0:1], v[58:59]
	;; [unrolled: 1-line block ×10, first 2 shown]
	v_add_f64_e64 v[20:21], v[80:81], -v[26:27]
	v_add_f64_e64 v[46:47], v[84:85], -v[54:55]
	;; [unrolled: 1-line block ×4, first 2 shown]
	v_fma_f64 v[0:1], v[8:9], -0.5, v[0:1]
	v_add_f64_e64 v[8:9], v[82:83], -v[32:33]
	v_fma_f64 v[10:11], v[10:11], -0.5, v[122:123]
	v_add_f64_e32 v[18:19], v[18:19], v[56:57]
	v_fma_f64 v[12:13], v[12:13], -0.5, v[116:117]
	v_add_f64_e32 v[22:23], v[22:23], v[30:31]
	;; [unrolled: 2-line block ×4, first 2 shown]
	v_add_f64_e32 v[44:45], v[44:45], v[38:39]
	v_add_nc_u32_e32 v116, 0x2800, v104
	v_add_nc_u32_e32 v117, 0x3000, v104
	v_add3_u32 v118, 0, v71, v90
	ds_load_b64 v[94:95], v108
	ds_load_b64 v[92:93], v109
	;; [unrolled: 1-line block ×3, first 2 shown]
	global_wb scope:SCOPE_SE
	s_wait_dscnt 0x0
	s_barrier_signal -1
	s_barrier_wait -1
	global_inv scope:SCOPE_SE
                                        ; implicit-def: $vgpr70_vgpr71
	v_fma_f64 v[64:65], v[20:21], s[2:3], v[0:1]
	v_fma_f64 v[20:21], v[20:21], s[6:7], v[0:1]
	;; [unrolled: 1-line block ×10, first 2 shown]
	v_and_b32_e32 v16, 0xffff, v146
	v_and_b32_e32 v17, 0xffff, v147
	v_mul_u32_u24_e32 v62, 0x1b0, v148
	v_mul_u32_u24_e32 v63, 0x1b0, v149
	s_delay_alu instid0(VALU_DEP_4) | instskip(NEXT) | instid1(VALU_DEP_4)
	v_mul_u32_u24_e32 v16, 0x1b0, v16
	v_mul_u32_u24_e32 v17, 0x1b0, v17
	s_delay_alu instid0(VALU_DEP_4) | instskip(NEXT) | instid1(VALU_DEP_4)
	v_add3_u32 v120, 0, v62, v74
	v_add3_u32 v119, 0, v63, v75
                                        ; implicit-def: $vgpr62_vgpr63
	s_delay_alu instid0(VALU_DEP_4) | instskip(NEXT) | instid1(VALU_DEP_4)
	v_add3_u32 v122, 0, v16, v72
	v_add3_u32 v121, 0, v17, v73
	ds_store_2addr_b64 v122, v[18:19], v[64:65] offset1:18
	ds_store_b64 v122, v[20:21] offset:288
	ds_store_2addr_b64 v121, v[22:23], v[66:67] offset1:18
	ds_store_b64 v121, v[8:9] offset:288
	;; [unrolled: 2-line block ×5, first 2 shown]
	global_wb scope:SCOPE_SE
	s_wait_dscnt 0x0
	s_barrier_signal -1
	s_barrier_wait -1
	global_inv scope:SCOPE_SE
	ds_load_2addr_b64 v[16:19], v112 offset0:14 offset1:140
	ds_load_2addr_b64 v[44:47], v113 offset0:28 offset1:154
	;; [unrolled: 1-line block ×6, first 2 shown]
	ds_load_b64 v[74:75], v104
	ds_load_b64 v[72:73], v106
                                        ; implicit-def: $vgpr60_vgpr61
                                        ; implicit-def: $vgpr64_vgpr65
                                        ; implicit-def: $vgpr66_vgpr67
	s_and_saveexec_b32 s1, s0
	s_cbranch_execz .LBB0_21
; %bb.20:
	ds_load_b64 v[2:3], v104 offset:4176
	ds_load_b64 v[70:71], v104 offset:6336
	;; [unrolled: 1-line block ×5, first 2 shown]
	ds_load_b64 v[0:1], v108
	ds_load_b64 v[60:61], v104 offset:14976
.LBB0_21:
	s_wait_alu 0xfffe
	s_or_b32 exec_lo, exec_lo, s1
	v_add_f64_e32 v[123:124], v[80:81], v[26:27]
	v_add_f64_e32 v[125:126], v[82:83], v[32:33]
	v_add_f64_e32 v[127:128], v[84:85], v[54:55]
	v_add_f64_e32 v[129:130], v[86:87], v[76:77]
	v_add_f64_e32 v[131:132], v[88:89], v[78:79]
	v_add_f64_e32 v[80:81], v[24:25], v[80:81]
	v_add_f64_e64 v[56:57], v[58:59], -v[56:57]
	v_add_f64_e32 v[58:59], v[4:5], v[82:83]
	v_add_f64_e32 v[82:83], v[94:95], v[84:85]
	;; [unrolled: 1-line block ×4, first 2 shown]
	v_add_f64_e64 v[30:31], v[48:49], -v[30:31]
	v_add_f64_e64 v[34:35], v[34:35], -v[50:51]
	;; [unrolled: 1-line block ×4, first 2 shown]
	global_wb scope:SCOPE_SE
	s_wait_dscnt 0x0
	s_barrier_signal -1
	s_barrier_wait -1
	global_inv scope:SCOPE_SE
	v_fma_f64 v[24:25], v[123:124], -0.5, v[24:25]
	v_fma_f64 v[4:5], v[125:126], -0.5, v[4:5]
	;; [unrolled: 1-line block ×5, first 2 shown]
	v_add_f64_e32 v[26:27], v[80:81], v[26:27]
                                        ; implicit-def: $vgpr80_vgpr81
	v_add_f64_e32 v[32:33], v[58:59], v[32:33]
	v_add_f64_e32 v[52:53], v[82:83], v[54:55]
	;; [unrolled: 1-line block ×4, first 2 shown]
                                        ; implicit-def: $vgpr82_vgpr83
                                        ; implicit-def: $vgpr84_vgpr85
	v_fma_f64 v[76:77], v[56:57], s[6:7], v[24:25]
	v_fma_f64 v[24:25], v[56:57], s[2:3], v[24:25]
	;; [unrolled: 1-line block ×10, first 2 shown]
	ds_store_2addr_b64 v122, v[26:27], v[76:77] offset1:18
	ds_store_b64 v122, v[24:25] offset:288
	ds_store_2addr_b64 v121, v[32:33], v[78:79] offset1:18
	ds_store_b64 v121, v[4:5] offset:288
	;; [unrolled: 2-line block ×5, first 2 shown]
	global_wb scope:SCOPE_SE
	s_wait_dscnt 0x0
	s_barrier_signal -1
	s_barrier_wait -1
	global_inv scope:SCOPE_SE
	ds_load_2addr_b64 v[24:27], v112 offset0:14 offset1:140
	ds_load_2addr_b64 v[52:55], v113 offset0:28 offset1:154
	;; [unrolled: 1-line block ×6, first 2 shown]
	ds_load_b64 v[58:59], v104
	ds_load_b64 v[4:5], v106
                                        ; implicit-def: $vgpr76_vgpr77
                                        ; implicit-def: $vgpr78_vgpr79
	s_and_saveexec_b32 s1, s0
	s_cbranch_execz .LBB0_23
; %bb.22:
	ds_load_b64 v[6:7], v104 offset:4176
	ds_load_b64 v[84:85], v104 offset:6336
	;; [unrolled: 1-line block ×5, first 2 shown]
	ds_load_b64 v[56:57], v108
	ds_load_b64 v[76:77], v104 offset:14976
.LBB0_23:
	s_wait_alu 0xfffe
	s_or_b32 exec_lo, exec_lo, s1
	v_mul_lo_u16 v86, v111, 19
	v_mul_lo_u16 v87, v110, 19
	s_mov_b32 s12, 0xe976ee23
	s_mov_b32 s2, 0x429ad128
	;; [unrolled: 1-line block ×3, first 2 shown]
	v_lshrrev_b16 v111, 10, v86
	v_lshrrev_b16 v112, 10, v87
	s_mov_b32 s6, 0x36b3c0b5
	s_mov_b32 s13, 0xbfe11646
	;; [unrolled: 1-line block ×3, first 2 shown]
	v_mul_lo_u16 v86, v111, 54
	v_mul_lo_u16 v87, v112, 54
	s_mov_b32 s15, 0x3fe948f6
	s_mov_b32 s7, 0x3fac98ee
	;; [unrolled: 1-line block ×3, first 2 shown]
	v_sub_nc_u16 v86, v98, v86
	v_sub_nc_u16 v90, v103, v87
	s_mov_b32 s16, 0x5476071b
	s_mov_b32 s24, 0xaaaaaaaa
	;; [unrolled: 1-line block ×3, first 2 shown]
	v_and_b32_e32 v110, 0xff, v86
	v_and_b32_e32 v113, 0xff, v90
	s_mov_b32 s21, 0xbfd5d0dc
	s_mov_b32 s17, 0x3fe77f67
	;; [unrolled: 1-line block ×3, first 2 shown]
	v_mul_u32_u24_e32 v86, 6, v110
	v_mul_u32_u24_e32 v90, 6, v113
	s_mov_b32 s25, 0xbff2aaaa
	s_wait_alu 0xfffe
	s_mov_b32 s20, s22
	s_mov_b32 s18, s16
	v_lshlrev_b32_e32 v94, 4, v86
	v_lshlrev_b32_e32 v95, 4, v90
	s_mov_b32 s26, 0x37c3f68c
	s_mov_b32 s27, 0x3fdc38aa
	v_lshlrev_b32_e32 v110, 3, v110
	s_clause 0xb
	global_load_b128 v[86:89], v94, s[4:5] offset:848
	global_load_b128 v[90:93], v95, s[4:5] offset:848
	;; [unrolled: 1-line block ×12, first 2 shown]
	v_lshrrev_b16 v94, 1, v105
	s_delay_alu instid0(VALU_DEP_1) | instskip(NEXT) | instid1(VALU_DEP_1)
	v_and_b32_e32 v94, 0xffff, v94
	v_mul_u32_u24_e32 v94, 0x97b5, v94
	s_delay_alu instid0(VALU_DEP_1) | instskip(NEXT) | instid1(VALU_DEP_1)
	v_lshrrev_b32_e32 v94, 20, v94
	v_mul_lo_u16 v94, v94, 54
	s_delay_alu instid0(VALU_DEP_1) | instskip(NEXT) | instid1(VALU_DEP_1)
	v_sub_nc_u16 v94, v105, v94
	v_and_b32_e32 v114, 0xffff, v94
	s_delay_alu instid0(VALU_DEP_1) | instskip(NEXT) | instid1(VALU_DEP_1)
	v_mul_u32_u24_e32 v94, 6, v114
	v_lshlrev_b32_e32 v171, 4, v94
	s_wait_loadcnt_dscnt 0xa06
	v_mul_f64_e32 v[175:176], v[54:55], v[92:93]
	v_mul_f64_e32 v[177:178], v[46:47], v[92:93]
	s_clause 0x3
	global_load_b128 v[92:95], v171, s[4:5] offset:832
	global_load_b128 v[155:158], v171, s[4:5] offset:848
	;; [unrolled: 1-line block ×4, first 2 shown]
	v_mul_f64_e32 v[167:168], v[52:53], v[88:89]
	v_mul_f64_e32 v[88:89], v[44:45], v[88:89]
	v_fma_f64 v[46:47], v[46:47], v[90:91], -v[175:176]
	v_fma_f64 v[54:55], v[54:55], v[90:91], v[177:178]
	s_wait_loadcnt_dscnt 0xc03
	v_mul_f64_e32 v[90:91], v[50:51], v[121:122]
	s_wait_loadcnt 0x7
	v_mul_f64_e32 v[175:176], v[36:37], v[141:142]
	v_fma_f64 v[44:45], v[44:45], v[86:87], -v[167:168]
	s_clause 0x1
	global_load_b128 v[167:170], v171, s[4:5] offset:896
	global_load_b128 v[171:174], v171, s[4:5] offset:912
	v_fma_f64 v[52:53], v[52:53], v[86:87], v[88:89]
	v_mul_f64_e32 v[86:87], v[48:49], v[117:118]
	v_mul_f64_e32 v[88:89], v[40:41], v[117:118]
	;; [unrolled: 1-line block ×5, first 2 shown]
	global_wb scope:SCOPE_SE
	s_wait_loadcnt_dscnt 0x0
	s_barrier_signal -1
	s_barrier_wait -1
	global_inv scope:SCOPE_SE
	v_fma_f64 v[42:43], v[42:43], v[119:120], -v[90:91]
	v_mul_f64_e32 v[90:91], v[30:31], v[137:138]
	v_fma_f64 v[40:41], v[40:41], v[115:116], -v[86:87]
	v_fma_f64 v[86:87], v[48:49], v[115:116], v[88:89]
	v_mul_f64_e32 v[88:89], v[26:27], v[129:130]
	v_mul_f64_e32 v[115:116], v[28:29], v[133:134]
	v_fma_f64 v[48:49], v[50:51], v[119:120], v[117:118]
	v_mul_f64_e32 v[117:118], v[12:13], v[141:142]
	v_mul_f64_e32 v[119:120], v[14:15], v[145:146]
	;; [unrolled: 1-line block ×4, first 2 shown]
	v_fma_f64 v[16:17], v[16:17], v[123:124], -v[121:122]
	v_fma_f64 v[24:25], v[24:25], v[123:124], v[125:126]
	v_mul_f64_e32 v[121:122], v[32:33], v[149:150]
	v_mul_f64_e32 v[123:124], v[10:11], v[153:154]
	;; [unrolled: 1-line block ×3, first 2 shown]
	v_fma_f64 v[50:51], v[18:19], v[127:128], -v[88:89]
	v_fma_f64 v[20:21], v[20:21], v[131:132], -v[115:116]
	v_mul_f64_e32 v[88:89], v[18:19], v[129:130]
	v_mul_f64_e32 v[115:116], v[38:39], v[145:146]
	v_fma_f64 v[18:19], v[22:23], v[135:136], -v[90:91]
	v_mul_f64_e32 v[90:91], v[22:23], v[137:138]
	v_fma_f64 v[22:23], v[12:13], v[139:140], -v[175:176]
	v_fma_f64 v[36:37], v[36:37], v[139:140], v[117:118]
	v_fma_f64 v[12:13], v[38:39], v[143:144], v[119:120]
	;; [unrolled: 1-line block ×4, first 2 shown]
	v_fma_f64 v[8:9], v[8:9], v[147:148], -v[121:122]
	v_fma_f64 v[34:35], v[34:35], v[151:152], v[123:124]
	v_add_f64_e32 v[117:118], v[44:45], v[40:41]
	v_fma_f64 v[10:11], v[10:11], v[151:152], -v[125:126]
	v_add_f64_e64 v[123:124], v[54:55], -v[48:49]
	v_add_f64_e32 v[38:39], v[16:17], v[20:21]
	v_fma_f64 v[26:27], v[26:27], v[127:128], v[88:89]
	v_fma_f64 v[14:15], v[14:15], v[143:144], -v[115:116]
	v_add_f64_e32 v[88:89], v[50:51], v[18:19]
	v_fma_f64 v[30:31], v[30:31], v[135:136], v[90:91]
	v_add_f64_e32 v[90:91], v[46:47], v[42:43]
	v_add_f64_e64 v[115:116], v[52:53], -v[86:87]
	v_add_f64_e64 v[119:120], v[32:33], -v[36:37]
	;; [unrolled: 1-line block ×3, first 2 shown]
	v_add_f64_e32 v[127:128], v[22:23], v[8:9]
	v_add_f64_e64 v[125:126], v[34:35], -v[12:13]
	v_add_f64_e32 v[129:130], v[117:118], v[38:39]
	v_add_f64_e32 v[133:134], v[14:15], v[10:11]
	v_add_f64_e64 v[131:132], v[26:27], -v[30:31]
	v_add_f64_e32 v[135:136], v[90:91], v[88:89]
	v_add_f64_e64 v[137:138], v[119:120], -v[115:116]
	v_add_f64_e64 v[139:140], v[115:116], -v[121:122]
	;; [unrolled: 1-line block ×4, first 2 shown]
	v_add_f64_e32 v[115:116], v[119:120], v[115:116]
	v_add_f64_e64 v[119:120], v[121:122], -v[119:120]
	v_add_f64_e64 v[38:39], v[117:118], -v[38:39]
	v_add_f64_e32 v[129:130], v[127:128], v[129:130]
	v_add_f64_e64 v[127:128], v[127:128], -v[117:118]
	v_add_f64_e64 v[147:148], v[88:89], -v[133:134]
	v_add_f64_e64 v[88:89], v[90:91], -v[88:89]
	v_add_f64_e64 v[145:146], v[123:124], -v[131:132]
	v_add_f64_e32 v[135:136], v[133:134], v[135:136]
	v_add_f64_e64 v[133:134], v[133:134], -v[90:91]
	v_add_f64_e32 v[123:124], v[125:126], v[123:124]
	v_mul_f64_e32 v[137:138], s[12:13], v[137:138]
	v_mul_f64_e32 v[149:150], s[2:3], v[139:140]
	;; [unrolled: 1-line block ×4, first 2 shown]
	v_add_f64_e64 v[125:126], v[131:132], -v[125:126]
	v_add_f64_e32 v[115:116], v[115:116], v[121:122]
	v_add_f64_e32 v[74:75], v[74:75], v[129:130]
	v_mul_f64_e32 v[117:118], s[6:7], v[127:128]
	v_mul_f64_e32 v[147:148], s[14:15], v[147:148]
	;; [unrolled: 1-line block ×3, first 2 shown]
	v_add_f64_e32 v[72:73], v[72:73], v[135:136]
	v_mul_f64_e32 v[90:91], s[6:7], v[133:134]
	v_add_f64_e32 v[121:122], v[123:124], v[131:132]
	v_fma_f64 v[123:124], v[139:140], s[2:3], -v[137:138]
	v_fma_f64 v[131:132], v[119:120], s[22:23], v[137:138]
	s_wait_alu 0xfffe
	v_fma_f64 v[119:120], v[119:120], s[20:21], -v[149:150]
	v_fma_f64 v[137:138], v[145:146], s[2:3], -v[141:142]
	v_fma_f64 v[127:128], v[127:128], s[6:7], v[143:144]
	v_fma_f64 v[139:140], v[38:39], s[18:19], -v[143:144]
	v_fma_f64 v[129:130], v[129:130], s[24:25], v[74:75]
	;; [unrolled: 2-line block ×3, first 2 shown]
	v_fma_f64 v[133:134], v[133:134], s[6:7], v[147:148]
	v_fma_f64 v[125:126], v[125:126], s[20:21], -v[151:152]
	v_fma_f64 v[135:136], v[135:136], s[24:25], v[72:73]
	v_fma_f64 v[141:142], v[88:89], s[18:19], -v[147:148]
	v_fma_f64 v[88:89], v[88:89], s[16:17], -v[90:91]
	v_mul_f64_e32 v[90:91], v[6:7], v[94:95]
	v_mul_f64_e32 v[94:95], v[2:3], v[94:95]
	;; [unrolled: 1-line block ×8, first 2 shown]
	v_fma_f64 v[131:132], v[115:116], s[26:27], v[131:132]
	v_fma_f64 v[123:124], v[115:116], s[26:27], v[123:124]
	;; [unrolled: 1-line block ×4, first 2 shown]
	v_add_f64_e32 v[127:128], v[127:128], v[129:130]
	v_add_f64_e32 v[139:140], v[139:140], v[129:130]
	v_fma_f64 v[117:118], v[121:122], s[26:27], v[117:118]
	v_add_f64_e32 v[129:130], v[38:39], v[129:130]
	v_fma_f64 v[121:122], v[121:122], s[26:27], v[125:126]
	v_add_f64_e32 v[125:126], v[133:134], v[135:136]
	v_add_f64_e32 v[133:134], v[141:142], v[135:136]
	v_add_f64_e32 v[135:136], v[88:89], v[135:136]
	v_fma_f64 v[38:39], v[2:3], v[92:93], -v[90:91]
	v_fma_f64 v[90:91], v[6:7], v[92:93], v[94:95]
	v_mul_f64_e32 v[157:158], v[78:79], v[169:170]
	v_mul_f64_e32 v[161:162], v[62:63], v[169:170]
	;; [unrolled: 1-line block ×4, first 2 shown]
	v_fma_f64 v[88:89], v[70:71], v[155:156], -v[143:144]
	v_fma_f64 v[84:85], v[84:85], v[155:156], v[145:146]
	v_fma_f64 v[66:67], v[66:67], v[159:160], -v[147:148]
	v_fma_f64 v[82:83], v[82:83], v[159:160], v[149:150]
	;; [unrolled: 2-line block ×3, first 2 shown]
	v_add_f64_e32 v[2:3], v[131:132], v[127:128]
	v_add_f64_e32 v[6:7], v[115:116], v[139:140]
	v_add_f64_e64 v[70:71], v[129:130], -v[123:124]
	v_fma_f64 v[62:63], v[62:63], v[167:168], -v[157:158]
	v_fma_f64 v[92:93], v[78:79], v[167:168], v[161:162]
	v_fma_f64 v[60:61], v[60:61], v[171:172], -v[119:120]
	v_fma_f64 v[94:95], v[76:77], v[171:172], v[141:142]
	v_add_f64_e32 v[78:79], v[123:124], v[129:130]
	v_add_f64_e64 v[119:120], v[139:140], -v[115:116]
	v_add_f64_e64 v[123:124], v[127:128], -v[131:132]
	v_add_f64_e32 v[127:128], v[117:118], v[125:126]
	v_add_f64_e32 v[129:130], v[121:122], v[133:134]
	v_add_f64_e64 v[131:132], v[135:136], -v[137:138]
	v_add_f64_e32 v[135:136], v[137:138], v[135:136]
	v_add_f64_e64 v[121:122], v[133:134], -v[121:122]
	v_add_f64_e64 v[116:117], v[125:126], -v[117:118]
	v_and_b32_e32 v76, 0xffff, v111
	v_and_b32_e32 v77, 0xffff, v112
	v_lshlrev_b32_e32 v111, 3, v113
	s_delay_alu instid0(VALU_DEP_3) | instskip(NEXT) | instid1(VALU_DEP_3)
	v_mul_u32_u24_e32 v76, 0xbd0, v76
	v_mul_u32_u24_e32 v77, 0xbd0, v77
	s_delay_alu instid0(VALU_DEP_2) | instskip(NEXT) | instid1(VALU_DEP_2)
	v_add3_u32 v112, 0, v76, v110
	v_add3_u32 v111, 0, v77, v111
	v_lshl_add_u32 v110, v114, 3, 0
	s_delay_alu instid0(VALU_DEP_3) | instskip(NEXT) | instid1(VALU_DEP_3)
	v_add_nc_u32_e32 v115, 0x400, v112
	v_add_nc_u32_e32 v113, 0x400, v111
	ds_store_2addr_b64 v112, v[74:75], v[2:3] offset1:54
	ds_store_2addr_b64 v112, v[6:7], v[70:71] offset0:108 offset1:162
	ds_store_2addr_b64 v115, v[78:79], v[119:120] offset0:88 offset1:142
	ds_store_b64 v112, v[123:124] offset:2592
	ds_store_2addr_b64 v111, v[72:73], v[127:128] offset1:54
	ds_store_2addr_b64 v111, v[129:130], v[131:132] offset0:108 offset1:162
	ds_store_2addr_b64 v113, v[135:136], v[121:122] offset0:88 offset1:142
	ds_store_b64 v111, v[116:117] offset:2592
	s_and_saveexec_b32 s1, s0
	s_cbranch_execz .LBB0_25
; %bb.24:
	v_add_f64_e32 v[2:3], v[88:89], v[62:63]
	v_add_f64_e32 v[6:7], v[38:39], v[60:61]
	v_add_f64_e64 v[70:71], v[80:81], -v[82:83]
	v_add_f64_e64 v[72:73], v[84:85], -v[92:93]
	v_add_f64_e32 v[74:75], v[66:67], v[64:65]
	v_add_f64_e64 v[76:77], v[90:91], -v[94:95]
	v_add_f64_e32 v[78:79], v[2:3], v[6:7]
	s_delay_alu instid0(VALU_DEP_4) | instskip(NEXT) | instid1(VALU_DEP_4)
	v_add_f64_e64 v[116:117], v[70:71], -v[72:73]
	v_add_f64_e64 v[118:119], v[6:7], -v[74:75]
	s_delay_alu instid0(VALU_DEP_4)
	v_add_f64_e64 v[120:121], v[72:73], -v[76:77]
	v_add_f64_e32 v[72:73], v[70:71], v[72:73]
	v_add_f64_e64 v[70:71], v[76:77], -v[70:71]
	v_add_f64_e32 v[78:79], v[74:75], v[78:79]
	v_add_f64_e64 v[74:75], v[74:75], -v[2:3]
	v_add_f64_e64 v[2:3], v[2:3], -v[6:7]
	v_mul_f64_e32 v[6:7], s[12:13], v[116:117]
	v_mul_f64_e32 v[116:117], s[14:15], v[118:119]
	;; [unrolled: 1-line block ×3, first 2 shown]
	v_add_f64_e32 v[72:73], v[72:73], v[76:77]
	v_add_f64_e32 v[0:1], v[0:1], v[78:79]
	v_mul_f64_e32 v[122:123], s[6:7], v[74:75]
	v_fma_f64 v[76:77], v[70:71], s[22:23], v[6:7]
	v_fma_f64 v[74:75], v[74:75], s[6:7], v[116:117]
	v_fma_f64 v[124:125], v[2:3], s[18:19], -v[116:117]
	v_fma_f64 v[70:71], v[70:71], s[20:21], -v[118:119]
	;; [unrolled: 1-line block ×3, first 2 shown]
	v_fma_f64 v[78:79], v[78:79], s[24:25], v[0:1]
	v_fma_f64 v[2:3], v[2:3], s[16:17], -v[122:123]
	v_fma_f64 v[76:77], v[72:73], s[26:27], v[76:77]
	v_fma_f64 v[70:71], v[72:73], s[26:27], v[70:71]
	;; [unrolled: 1-line block ×3, first 2 shown]
	v_add_f64_e32 v[74:75], v[74:75], v[78:79]
	v_add_f64_e32 v[72:73], v[124:125], v[78:79]
	;; [unrolled: 1-line block ×3, first 2 shown]
	s_delay_alu instid0(VALU_DEP_3) | instskip(NEXT) | instid1(VALU_DEP_3)
	v_add_f64_e32 v[118:119], v[76:77], v[74:75]
	v_add_f64_e64 v[78:79], v[72:73], -v[70:71]
	s_delay_alu instid0(VALU_DEP_3)
	v_add_f64_e64 v[116:117], v[2:3], -v[6:7]
	v_add_f64_e32 v[70:71], v[70:71], v[72:73]
	v_add_f64_e32 v[2:3], v[6:7], v[2:3]
	v_add_f64_e64 v[6:7], v[74:75], -v[76:77]
	v_add_nc_u32_e32 v72, 0x2c00, v110
	v_add_nc_u32_e32 v73, 0x3000, v110
	ds_store_2addr_b64 v72, v[0:1], v[118:119] offset0:104 offset1:158
	ds_store_2addr_b64 v73, v[70:71], v[116:117] offset0:84 offset1:138
	;; [unrolled: 1-line block ×3, first 2 shown]
	ds_store_b64 v110, v[6:7] offset:14688
.LBB0_25:
	s_wait_alu 0xfffe
	s_or_b32 exec_lo, exec_lo, s1
	v_add_f64_e32 v[0:1], v[24:25], v[28:29]
	v_add_f64_e32 v[2:3], v[52:53], v[86:87]
	;; [unrolled: 1-line block ×5, first 2 shown]
	v_add_f64_e64 v[28:29], v[44:45], -v[40:41]
	v_add_f64_e64 v[8:9], v[8:9], -v[22:23]
	v_add_f64_e64 v[16:17], v[16:17], -v[20:21]
	v_add_f64_e64 v[22:23], v[46:47], -v[42:43]
	v_add_f64_e32 v[12:13], v[12:13], v[34:35]
	v_add_f64_e64 v[10:11], v[10:11], -v[14:15]
	v_add_f64_e64 v[14:15], v[50:51], -v[18:19]
	global_wb scope:SCOPE_SE
	s_wait_dscnt 0x0
	s_barrier_signal -1
	s_barrier_wait -1
	global_inv scope:SCOPE_SE
	ds_load_b64 v[76:77], v109
	v_lshl_add_u32 v107, v107, 3, 0
	v_add_f64_e32 v[20:21], v[2:3], v[0:1]
	v_add_f64_e32 v[18:19], v[24:25], v[6:7]
	v_add_f64_e64 v[30:31], v[0:1], -v[26:27]
	v_add_f64_e64 v[32:33], v[26:27], -v[2:3]
	;; [unrolled: 1-line block ×5, first 2 shown]
	v_add_f64_e32 v[2:3], v[8:9], v[28:29]
	v_add_f64_e64 v[40:41], v[10:11], -v[22:23]
	v_add_f64_e64 v[42:43], v[22:23], -v[14:15]
	v_add_f64_e64 v[8:9], v[16:17], -v[8:9]
	v_add_f64_e32 v[22:23], v[10:11], v[22:23]
	v_add_f64_e64 v[10:11], v[14:15], -v[10:11]
	v_add_f64_e32 v[20:21], v[26:27], v[20:21]
	v_add_f64_e64 v[26:27], v[6:7], -v[12:13]
	v_add_f64_e32 v[18:19], v[12:13], v[18:19]
	v_add_f64_e64 v[12:13], v[12:13], -v[24:25]
	v_mul_f64_e32 v[28:29], s[14:15], v[30:31]
	v_mul_f64_e32 v[30:31], s[6:7], v[32:33]
	;; [unrolled: 1-line block ×4, first 2 shown]
	v_add_f64_e32 v[2:3], v[2:3], v[16:17]
	v_mul_f64_e32 v[40:41], s[12:13], v[40:41]
	v_mul_f64_e32 v[48:49], s[2:3], v[42:43]
	v_add_f64_e32 v[14:15], v[22:23], v[14:15]
	v_add_f64_e32 v[46:47], v[58:59], v[20:21]
	v_mul_f64_e32 v[26:27], s[14:15], v[26:27]
	v_add_f64_e32 v[50:51], v[4:5], v[18:19]
	v_add_f64_e64 v[4:5], v[24:25], -v[6:7]
	v_mul_f64_e32 v[6:7], s[6:7], v[12:13]
	v_fma_f64 v[16:17], v[32:33], s[6:7], v[28:29]
	v_fma_f64 v[22:23], v[0:1], s[16:17], -v[30:31]
	v_fma_f64 v[24:25], v[8:9], s[22:23], v[34:35]
	v_fma_f64 v[30:31], v[36:37], s[2:3], -v[34:35]
	v_fma_f64 v[8:9], v[8:9], s[20:21], -v[44:45]
	v_fma_f64 v[0:1], v[0:1], s[18:19], -v[28:29]
	v_fma_f64 v[28:29], v[10:11], s[22:23], v[40:41]
	v_fma_f64 v[32:33], v[42:43], s[2:3], -v[40:41]
	v_fma_f64 v[10:11], v[10:11], s[20:21], -v[48:49]
	v_fma_f64 v[20:21], v[20:21], s[24:25], v[46:47]
	v_fma_f64 v[12:13], v[12:13], s[6:7], v[26:27]
	;; [unrolled: 1-line block ×3, first 2 shown]
	v_fma_f64 v[26:27], v[4:5], s[18:19], -v[26:27]
	v_fma_f64 v[4:5], v[4:5], s[16:17], -v[6:7]
	v_fma_f64 v[6:7], v[2:3], s[26:27], v[24:25]
	v_fma_f64 v[24:25], v[2:3], s[26:27], v[30:31]
	;; [unrolled: 1-line block ×4, first 2 shown]
	v_add_f64_e32 v[8:9], v[16:17], v[20:21]
	v_add_f64_e32 v[0:1], v[0:1], v[20:21]
	;; [unrolled: 1-line block ×3, first 2 shown]
	v_fma_f64 v[20:21], v[14:15], s[26:27], v[28:29]
	v_add_f64_e32 v[12:13], v[12:13], v[18:19]
	v_fma_f64 v[22:23], v[14:15], s[26:27], v[32:33]
	v_add_f64_e32 v[14:15], v[26:27], v[18:19]
	v_add_f64_e32 v[4:5], v[4:5], v[18:19]
	v_add_f64_e64 v[26:27], v[8:9], -v[6:7]
	v_add_f64_e64 v[28:29], v[0:1], -v[2:3]
	v_add_f64_e32 v[30:31], v[24:25], v[16:17]
	v_add_f64_e64 v[24:25], v[16:17], -v[24:25]
	v_add_f64_e32 v[32:33], v[2:3], v[0:1]
	v_add_f64_e32 v[34:35], v[6:7], v[8:9]
	v_add_f64_e64 v[36:37], v[12:13], -v[20:21]
	v_add_f64_e64 v[40:41], v[14:15], -v[10:11]
	v_add_f64_e32 v[42:43], v[22:23], v[4:5]
	v_add_f64_e64 v[22:23], v[4:5], -v[22:23]
	v_add_f64_e32 v[44:45], v[10:11], v[14:15]
	v_add_nc_u32_e32 v0, 0x2000, v104
	v_add_f64_e32 v[20:21], v[20:21], v[12:13]
	v_add_nc_u32_e32 v4, 0x2800, v104
	v_add_nc_u32_e32 v5, 0xc00, v104
	;; [unrolled: 1-line block ×4, first 2 shown]
	ds_load_2addr_b64 v[0:3], v0 offset0:110 offset1:236
	ds_load_2addr_b64 v[8:11], v4 offset0:106 offset1:232
	;; [unrolled: 1-line block ×5, first 2 shown]
	ds_load_b64 v[74:75], v104
	ds_load_b64 v[78:79], v107
	;; [unrolled: 1-line block ×4, first 2 shown]
	global_wb scope:SCOPE_SE
	s_wait_dscnt 0x0
	s_barrier_signal -1
	s_barrier_wait -1
	global_inv scope:SCOPE_SE
	ds_store_2addr_b64 v112, v[46:47], v[26:27] offset1:54
	ds_store_2addr_b64 v112, v[28:29], v[30:31] offset0:108 offset1:162
	ds_store_2addr_b64 v115, v[24:25], v[32:33] offset0:88 offset1:142
	ds_store_b64 v112, v[34:35] offset:2592
	ds_store_2addr_b64 v111, v[50:51], v[36:37] offset1:54
	ds_store_2addr_b64 v111, v[40:41], v[42:43] offset0:108 offset1:162
	ds_store_2addr_b64 v113, v[22:23], v[44:45] offset0:88 offset1:142
	ds_store_b64 v111, v[20:21] offset:2592
	s_and_saveexec_b32 s1, s0
	s_cbranch_execz .LBB0_27
; %bb.26:
	v_add_f64_e32 v[20:21], v[90:91], v[94:95]
	v_add_f64_e32 v[22:23], v[84:85], v[92:93]
	;; [unrolled: 1-line block ×3, first 2 shown]
	v_add_f64_e64 v[26:27], v[88:89], -v[62:63]
	v_add_f64_e64 v[28:29], v[64:65], -v[66:67]
	;; [unrolled: 1-line block ×3, first 2 shown]
	s_mov_b32 s2, 0x37e14327
	s_mov_b32 s3, 0x3fe948f6
	;; [unrolled: 1-line block ×6, first 2 shown]
	v_add_f64_e32 v[32:33], v[22:23], v[20:21]
	v_add_f64_e64 v[34:35], v[20:21], -v[24:25]
	v_add_f64_e64 v[36:37], v[24:25], -v[22:23]
	;; [unrolled: 1-line block ×5, first 2 shown]
	v_add_f64_e32 v[22:23], v[28:29], v[26:27]
	v_add_f64_e64 v[26:27], v[30:31], -v[28:29]
	v_add_f64_e32 v[24:25], v[24:25], v[32:33]
	s_wait_alu 0xfffe
	v_mul_f64_e32 v[28:29], s[2:3], v[34:35]
	s_mov_b32 s2, 0x429ad128
	v_mul_f64_e32 v[34:35], s[12:13], v[38:39]
	s_mov_b32 s3, 0x3febfeb5
	v_mul_f64_e32 v[32:33], s[6:7], v[36:37]
	s_wait_alu 0xfffe
	v_mul_f64_e32 v[38:39], s[2:3], v[40:41]
	s_mov_b32 s12, 0xaaaaaaaa
	s_mov_b32 s13, 0xbff2aaaa
	v_add_f64_e32 v[22:23], v[22:23], v[30:31]
	v_add_f64_e32 v[42:43], v[56:57], v[24:25]
	v_fma_f64 v[30:31], v[36:37], s[6:7], v[28:29]
	v_fma_f64 v[36:37], v[26:27], s[16:17], v[34:35]
	s_mov_b32 s17, 0xbfd5d0dc
	v_fma_f64 v[32:33], v[20:21], s[14:15], -v[32:33]
	s_mov_b32 s15, 0xbfe77f67
	v_fma_f64 v[34:35], v[40:41], s[2:3], -v[34:35]
	s_wait_alu 0xfffe
	v_fma_f64 v[26:27], v[26:27], s[16:17], -v[38:39]
	v_fma_f64 v[20:21], v[20:21], s[14:15], -v[28:29]
	s_mov_b32 s2, 0x37c3f68c
	s_mov_b32 s3, 0x3fdc38aa
	v_fma_f64 v[24:25], v[24:25], s[12:13], v[42:43]
	s_wait_alu 0xfffe
	v_fma_f64 v[28:29], v[22:23], s[2:3], v[36:37]
	v_fma_f64 v[34:35], v[22:23], s[2:3], v[34:35]
	;; [unrolled: 1-line block ×3, first 2 shown]
	s_delay_alu instid0(VALU_DEP_4) | instskip(SKIP_2) | instid1(VALU_DEP_3)
	v_add_f64_e32 v[26:27], v[30:31], v[24:25]
	v_add_f64_e32 v[20:21], v[20:21], v[24:25]
	;; [unrolled: 1-line block ×3, first 2 shown]
	v_add_f64_e64 v[30:31], v[26:27], -v[28:29]
	s_delay_alu instid0(VALU_DEP_3) | instskip(NEXT) | instid1(VALU_DEP_3)
	v_add_f64_e64 v[32:33], v[20:21], -v[22:23]
	v_add_f64_e32 v[36:37], v[34:35], v[24:25]
	v_add_f64_e64 v[24:25], v[24:25], -v[34:35]
	v_add_f64_e32 v[20:21], v[22:23], v[20:21]
	v_add_f64_e32 v[22:23], v[28:29], v[26:27]
	v_add_nc_u32_e32 v26, 0x2c00, v110
	v_add_nc_u32_e32 v27, 0x3000, v110
	ds_store_2addr_b64 v26, v[42:43], v[30:31] offset0:104 offset1:158
	ds_store_2addr_b64 v27, v[32:33], v[36:37] offset0:84 offset1:138
	;; [unrolled: 1-line block ×3, first 2 shown]
	ds_store_b64 v110, v[22:23] offset:14688
.LBB0_27:
	s_wait_alu 0xfffe
	s_or_b32 exec_lo, exec_lo, s1
	global_wb scope:SCOPE_SE
	s_wait_dscnt 0x0
	s_barrier_signal -1
	s_barrier_wait -1
	global_inv scope:SCOPE_SE
	s_and_saveexec_b32 s0, vcc_lo
	s_cbranch_execz .LBB0_29
; %bb.28:
	v_dual_mov_b32 v21, 0 :: v_dual_lshlrev_b32 v20, 2, v105
	v_mad_co_u64_u32 v[120:121], null, s8, v100, 0
	v_mad_co_u64_u32 v[122:123], null, s8, v101, 0
	s_delay_alu instid0(VALU_DEP_3) | instskip(SKIP_4) | instid1(VALU_DEP_4)
	v_lshlrev_b64_e32 v[22:23], 4, v[20:21]
	v_lshlrev_b32_e32 v20, 2, v103
	v_mad_co_u64_u32 v[128:129], null, s8, v102, 0
	v_add_nc_u32_e32 v144, 0x5e8, v98
	v_mad_co_u64_u32 v[124:125], null, s8, v97, 0
	v_lshlrev_b64_e32 v[24:25], 4, v[20:21]
	v_lshlrev_b32_e32 v20, 2, v98
	v_add_co_u32 v22, vcc_lo, s4, v22
	s_wait_alu 0xfffd
	v_add_co_ci_u32_e32 v23, vcc_lo, s5, v23, vcc_lo
	s_delay_alu instid0(VALU_DEP_3)
	v_lshlrev_b64_e32 v[20:21], 4, v[20:21]
	v_add_co_u32 v28, vcc_lo, s4, v24
	s_wait_alu 0xfffd
	v_add_co_ci_u32_e32 v29, vcc_lo, s5, v25, vcc_lo
	s_clause 0x3
	global_load_b128 v[44:47], v[22:23], off offset:6016
	global_load_b128 v[32:35], v[22:23], off offset:6032
	;; [unrolled: 1-line block ×4, first 2 shown]
	v_add_co_u32 v60, vcc_lo, s4, v20
	s_wait_alu 0xfffd
	v_add_co_ci_u32_e32 v61, vcc_lo, s5, v21, vcc_lo
	s_clause 0x7
	global_load_b128 v[20:23], v[28:29], off offset:6032
	global_load_b128 v[48:51], v[28:29], off offset:6016
	;; [unrolled: 1-line block ×8, first 2 shown]
	v_mad_co_u64_u32 v[132:133], null, s8, v144, 0
	v_add_nc_u32_e32 v93, 0x1800, v104
	v_add_nc_u32_e32 v92, 0xc00, v104
	;; [unrolled: 1-line block ×4, first 2 shown]
	v_mad_co_u64_u32 v[126:127], null, s8, v99, 0
	v_add_nc_u32_e32 v94, 0x2000, v104
	ds_load_b64 v[86:87], v109
	ds_load_b64 v[82:83], v108
	;; [unrolled: 1-line block ×5, first 2 shown]
	ds_load_2addr_b64 v[104:107], v93 offset0:114 offset1:240
	ds_load_2addr_b64 v[108:111], v92 offset0:120 offset1:246
	;; [unrolled: 1-line block ×5, first 2 shown]
	v_add_nc_u32_e32 v143, 0x46e, v98
	v_lshrrev_b32_e32 v138, 1, v96
	v_mad_co_u64_u32 v[90:91], null, s8, v98, 0
	v_mov_b32_e32 v103, v121
	s_delay_alu instid0(VALU_DEP_4)
	v_mad_co_u64_u32 v[130:131], null, s8, v143, 0
	v_add_nc_u32_e32 v146, 0x666, v98
	v_mul_hi_u32 v147, 0xad602b59, v138
	v_mov_b32_e32 v121, v123
	v_add_nc_u32_e32 v145, 0x4ec, v98
	v_mov_b32_e32 v123, v125
	v_mov_b32_e32 v125, v127
	;; [unrolled: 1-line block ×3, first 2 shown]
	v_add_co_u32 v68, vcc_lo, s10, v68
	v_mad_co_u64_u32 v[134:135], null, s8, v145, 0
	s_wait_alu 0xfffd
	v_add_co_ci_u32_e32 v69, vcc_lo, s11, v69, vcc_lo
	s_wait_dscnt 0x0
	v_mad_co_u64_u32 v[138:139], null, s9, v98, v[91:92]
	v_mov_b32_e32 v91, v131
	v_mad_co_u64_u32 v[136:137], null, s8, v146, 0
	v_mad_co_u64_u32 v[139:140], null, s9, v100, v[103:104]
	;; [unrolled: 1-line block ×3, first 2 shown]
	v_lshrrev_b32_e32 v121, 7, v147
	v_mad_co_u64_u32 v[140:141], null, s9, v97, v[123:124]
	v_mov_b32_e32 v98, v133
	v_mad_co_u64_u32 v[141:142], null, s9, v99, v[125:126]
	s_delay_alu instid0(VALU_DEP_4) | instskip(SKIP_3) | instid1(VALU_DEP_4)
	v_mad_u32_u24 v166, 0x5e8, v121, v96
	v_mov_b32_e32 v99, v137
	v_mad_co_u64_u32 v[101:102], null, s9, v102, v[127:128]
	v_mad_co_u64_u32 v[102:103], null, s9, v143, v[91:92]
	v_add_nc_u32_e32 v170, 0x46e, v166
	s_delay_alu instid0(VALU_DEP_4) | instskip(SKIP_4) | instid1(VALU_DEP_4)
	v_mad_co_u64_u32 v[142:143], null, s9, v144, v[98:99]
	v_dual_mov_b32 v97, v135 :: v_dual_add_nc_u32 v168, 0x17a, v166
	v_mov_b32_e32 v91, v138
	v_mov_b32_e32 v121, v139
	;; [unrolled: 1-line block ×3, first 2 shown]
	v_mad_co_u64_u32 v[97:98], null, s9, v145, v[97:98]
	v_mad_co_u64_u32 v[98:99], null, s9, v146, v[99:100]
	v_mov_b32_e32 v133, v142
	v_lshlrev_b64_e32 v[90:91], 4, v[90:91]
	v_lshlrev_b64_e32 v[120:121], 4, v[120:121]
	v_mov_b32_e32 v125, v140
	v_lshlrev_b64_e32 v[122:123], 4, v[122:123]
	v_mov_b32_e32 v127, v141
	v_mov_b32_e32 v129, v101
	v_add_co_u32 v90, vcc_lo, v68, v90
	s_wait_alu 0xfffd
	v_add_co_ci_u32_e32 v91, vcc_lo, v69, v91, vcc_lo
	v_mov_b32_e32 v131, v102
	v_lshlrev_b64_e32 v[101:102], 4, v[124:125]
	v_add_co_u32 v120, vcc_lo, v68, v120
	v_mad_co_u64_u32 v[99:100], null, s8, v166, 0
	v_add_nc_u32_e32 v169, 0x2f4, v166
	s_wait_alu 0xfffd
	v_add_co_ci_u32_e32 v121, vcc_lo, v69, v121, vcc_lo
	v_lshlrev_b64_e32 v[124:125], 4, v[126:127]
	v_add_co_u32 v122, vcc_lo, v68, v122
	s_wait_alu 0xfffd
	v_add_co_ci_u32_e32 v123, vcc_lo, v69, v123, vcc_lo
	v_lshlrev_b64_e32 v[126:127], 4, v[128:129]
	v_add_co_u32 v101, vcc_lo, v68, v101
	v_mad_co_u64_u32 v[128:129], null, s8, v169, 0
	s_wait_alu 0xfffd
	v_add_co_ci_u32_e32 v102, vcc_lo, v69, v102, vcc_lo
	v_lshlrev_b64_e32 v[130:131], 4, v[130:131]
	v_add_co_u32 v124, vcc_lo, v68, v124
	v_dual_mov_b32 v137, v98 :: v_dual_mov_b32 v98, v100
	s_wait_alu 0xfffd
	v_add_co_ci_u32_e32 v125, vcc_lo, v69, v125, vcc_lo
	v_add_co_u32 v126, vcc_lo, v68, v126
	v_lshlrev_b64_e32 v[132:133], 4, v[132:133]
	s_wait_alu 0xfffd
	v_add_co_ci_u32_e32 v127, vcc_lo, v69, v127, vcc_lo
	v_add_nc_u32_e32 v171, 0x5e8, v166
	v_mad_co_u64_u32 v[166:167], null, s9, v166, v[98:99]
	v_mov_b32_e32 v98, v129
	v_mad_co_u64_u32 v[138:139], null, s8, v170, 0
	s_delay_alu instid0(VALU_DEP_4) | instskip(SKIP_3) | instid1(VALU_DEP_4)
	v_mad_co_u64_u32 v[140:141], null, s8, v171, 0
	v_mov_b32_e32 v135, v97
	v_mad_co_u64_u32 v[96:97], null, s8, v168, 0
	s_mov_b32 s2, 0x134454ff
	v_mov_b32_e32 v100, v139
	s_delay_alu instid0(VALU_DEP_3)
	v_lshlrev_b64_e32 v[134:135], 4, v[134:135]
	s_mov_b32 s3, 0xbfee6f0e
	s_mov_b32 s7, 0x3fee6f0e
	s_wait_alu 0xfffe
	s_mov_b32 s6, s2
	s_mov_b32 s4, 0x4755a5e
	s_mov_b32 s5, 0x3fe2cf23
	s_mov_b32 s11, 0xbfe2cf23
	s_wait_alu 0xfffe
	s_mov_b32 s10, s4
	s_mov_b32 s0, 0x372fe950
	;; [unrolled: 1-line block ×3, first 2 shown]
	v_lshlrev_b64_e32 v[136:137], 4, v[136:137]
	s_wait_loadcnt 0xb
	v_mul_f64_e32 v[142:143], v[44:45], v[110:111]
	v_mul_f64_e32 v[110:111], v[46:47], v[110:111]
	s_wait_loadcnt 0x9
	v_mul_f64_e32 v[144:145], v[40:41], v[118:119]
	v_mul_f64_e32 v[118:119], v[42:43], v[118:119]
	v_mul_f64_e32 v[146:147], v[32:33], v[106:107]
	s_wait_loadcnt 0x8
	v_mul_f64_e32 v[148:149], v[36:37], v[112:113]
	;; [unrolled: 4-line block ×3, first 2 shown]
	s_wait_loadcnt 0x6
	v_mul_f64_e32 v[152:153], v[48:49], v[108:109]
	s_wait_loadcnt 0x5
	v_mul_f64_e32 v[154:155], v[24:25], v[94:95]
	;; [unrolled: 2-line block ×3, first 2 shown]
	v_mul_f64_e32 v[108:109], v[50:51], v[108:109]
	s_wait_loadcnt 0x3
	v_mul_f64_e32 v[158:159], v[52:53], v[88:89]
	s_wait_loadcnt 0x2
	;; [unrolled: 2-line block ×4, first 2 shown]
	v_mul_f64_e32 v[164:165], v[60:61], v[92:93]
	v_mul_f64_e32 v[88:89], v[54:55], v[88:89]
	;; [unrolled: 1-line block ×8, first 2 shown]
	v_mov_b32_e32 v105, v141
	v_fma_f64 v[46:47], v[18:19], v[46:47], v[142:143]
	v_fma_f64 v[18:19], v[18:19], v[44:45], -v[110:111]
	v_fma_f64 v[42:43], v[14:15], v[42:43], v[144:145]
	v_fma_f64 v[14:15], v[14:15], v[40:41], -v[118:119]
	v_fma_f64 v[34:35], v[6:7], v[34:35], v[146:147]
	v_fma_f64 v[38:39], v[8:9], v[38:39], v[148:149]
	v_fma_f64 v[6:7], v[6:7], v[32:33], -v[106:107]
	v_fma_f64 v[8:9], v[8:9], v[36:37], -v[112:113]
	v_fma_f64 v[22:23], v[4:5], v[22:23], v[150:151]
	v_fma_f64 v[32:33], v[16:17], v[50:51], v[152:153]
	v_fma_f64 v[26:27], v[2:3], v[26:27], v[154:155]
	v_fma_f64 v[30:31], v[12:13], v[30:31], v[156:157]
	v_fma_f64 v[16:17], v[16:17], v[48:49], -v[108:109]
	v_fma_f64 v[36:37], v[78:79], v[54:55], v[158:159]
	v_fma_f64 v[40:41], v[76:77], v[66:67], v[160:161]
	;; [unrolled: 1-line block ×4, first 2 shown]
	v_fma_f64 v[52:53], v[78:79], v[52:53], -v[88:89]
	v_fma_f64 v[0:1], v[0:1], v[60:61], -v[92:93]
	;; [unrolled: 1-line block ×7, first 2 shown]
	v_add_co_u32 v60, vcc_lo, v68, v130
	s_wait_alu 0xfffd
	v_add_co_ci_u32_e32 v61, vcc_lo, v69, v131, vcc_lo
	v_add_co_u32 v62, vcc_lo, v68, v132
	s_wait_alu 0xfffd
	v_add_co_ci_u32_e32 v63, vcc_lo, v69, v133, vcc_lo
	v_add_co_u32 v64, vcc_lo, v68, v134
	v_mad_co_u64_u32 v[12:13], null, s9, v168, v[97:98]
	v_mad_co_u64_u32 v[20:21], null, s9, v169, v[98:99]
	v_mad_co_u64_u32 v[24:25], null, s9, v170, v[100:101]
	v_add_f64_e32 v[56:57], v[46:47], v[42:43]
	v_add_f64_e32 v[78:79], v[18:19], v[14:15]
	;; [unrolled: 1-line block ×4, first 2 shown]
	v_mad_co_u64_u32 v[28:29], null, s9, v171, v[105:106]
	v_add_f64_e32 v[131:132], v[6:7], v[8:9]
	v_add_f64_e32 v[155:156], v[32:33], v[80:81]
	;; [unrolled: 1-line block ×5, first 2 shown]
	v_mov_b32_e32 v100, v166
	v_add_f64_e32 v[167:168], v[40:41], v[84:85]
	v_add_f64_e32 v[94:95], v[40:41], v[44:45]
	;; [unrolled: 1-line block ×3, first 2 shown]
	v_add_f64_e64 v[58:59], v[34:35], -v[46:47]
	v_add_f64_e32 v[107:108], v[52:53], v[0:1]
	v_add_f64_e32 v[169:170], v[74:75], v[50:51]
	;; [unrolled: 1-line block ×3, first 2 shown]
	v_add_f64_e64 v[76:77], v[38:39], -v[42:43]
	v_add_f64_e32 v[117:118], v[4:5], v[2:3]
	v_add_f64_e32 v[129:130], v[16:17], v[10:11]
	v_add_f64_e64 v[88:89], v[46:47], -v[34:35]
	v_add_f64_e64 v[97:98], v[42:43], -v[38:39]
	;; [unrolled: 1-line block ×6, first 2 shown]
	v_add_f64_e32 v[141:142], v[46:47], v[82:83]
	v_add_f64_e64 v[157:158], v[4:5], -v[16:17]
	v_add_f64_e64 v[161:162], v[16:17], -v[4:5]
	v_add_f64_e64 v[165:166], v[4:5], -v[2:3]
	v_add_f64_e64 v[16:17], v[16:17], -v[10:11]
	v_add_f64_e64 v[171:172], v[50:51], -v[54:55]
	v_add_f64_e64 v[18:19], v[18:19], -v[14:15]
	v_add_f64_e64 v[143:144], v[6:7], -v[8:9]
	v_add_f64_e64 v[147:148], v[22:23], -v[32:33]
	v_add_f64_e64 v[151:152], v[32:33], -v[22:23]
	v_fma_f64 v[56:57], v[56:57], -0.5, v[82:83]
	v_add_f64_e64 v[32:33], v[32:33], -v[30:31]
	v_add_f64_e64 v[173:174], v[22:23], -v[26:27]
	v_fma_f64 v[66:67], v[66:67], -0.5, v[82:83]
	v_add_f64_e64 v[82:83], v[52:53], -v[0:1]
	v_add_f64_e64 v[145:146], v[34:35], -v[38:39]
	;; [unrolled: 1-line block ×3, first 2 shown]
	v_fma_f64 v[78:79], v[78:79], -0.5, v[70:71]
	v_fma_f64 v[70:71], v[131:132], -0.5, v[70:71]
	;; [unrolled: 1-line block ×4, first 2 shown]
	v_add_f64_e64 v[177:178], v[52:53], -v[50:51]
	v_add_f64_e64 v[50:51], v[50:51], -v[52:53]
	v_fma_f64 v[92:93], v[94:95], -0.5, v[84:85]
	v_add_f64_e64 v[94:95], v[40:41], -v[44:45]
	v_fma_f64 v[84:85], v[103:104], -0.5, v[84:85]
	v_fma_f64 v[107:108], v[107:108], -0.5, v[74:75]
	v_add_f64_e64 v[103:104], v[36:37], -v[48:49]
	v_fma_f64 v[74:75], v[109:110], -0.5, v[74:75]
	v_add_f64_e32 v[6:7], v[6:7], v[133:134]
	v_fma_f64 v[117:118], v[117:118], -0.5, v[72:73]
	v_fma_f64 v[72:73], v[129:130], -0.5, v[72:73]
	v_add_f64_e64 v[129:130], v[36:37], -v[40:41]
	v_add_f64_e64 v[40:41], v[40:41], -v[36:37]
	v_add_f64_e32 v[21:22], v[22:23], v[155:156]
	v_add_f64_e32 v[4:5], v[4:5], v[163:164]
	;; [unrolled: 1-line block ×4, first 2 shown]
	v_add_f64_e64 v[149:150], v[26:27], -v[30:31]
	v_add_f64_e64 v[153:154], v[30:31], -v[26:27]
	;; [unrolled: 1-line block ×5, first 2 shown]
	v_add_f64_e32 v[58:59], v[58:59], v[76:77]
	v_add_f64_e32 v[76:77], v[88:89], v[97:98]
	;; [unrolled: 1-line block ×5, first 2 shown]
	v_add_f64_e64 v[175:176], v[48:49], -v[44:45]
	v_add_f64_e64 v[179:180], v[0:1], -v[54:55]
	v_fma_f64 v[97:98], v[143:144], s[2:3], v[56:57]
	v_fma_f64 v[111:112], v[18:19], s[6:7], v[66:67]
	v_add_f64_e64 v[109:110], v[10:11], -v[2:3]
	v_fma_f64 v[56:57], v[143:144], s[6:7], v[56:57]
	v_fma_f64 v[66:67], v[18:19], s[2:3], v[66:67]
	;; [unrolled: 1-line block ×22, first 2 shown]
	v_add_f64_e32 v[6:7], v[6:7], v[8:9]
	v_add_f64_e32 v[8:9], v[26:27], v[21:22]
	;; [unrolled: 1-line block ×13, first 2 shown]
	v_fma_f64 v[36:37], v[18:19], s[4:5], v[97:98]
	v_fma_f64 v[38:39], v[143:144], s[4:5], v[111:112]
	v_add_f64_e32 v[109:110], v[161:162], v[109:110]
	s_wait_alu 0xfffe
	v_fma_f64 v[18:19], v[18:19], s[10:11], v[56:57]
	v_fma_f64 v[56:57], v[143:144], s[10:11], v[66:67]
	v_fma_f64 v[66:67], v[46:47], s[10:11], v[113:114]
	v_fma_f64 v[113:114], v[145:146], s[4:5], v[185:186]
	v_fma_f64 v[48:49], v[16:17], s[4:5], v[115:116]
	v_fma_f64 v[16:17], v[16:17], s[10:11], v[86:87]
	v_fma_f64 v[50:51], v[165:166], s[4:5], v[133:134]
	v_fma_f64 v[80:81], v[165:166], s[10:11], v[80:81]
	v_fma_f64 v[52:53], v[171:172], s[4:5], v[141:142]
	v_fma_f64 v[86:87], v[171:172], s[10:11], v[92:93]
	v_fma_f64 v[92:93], v[82:83], s[4:5], v[155:156]
	v_fma_f64 v[82:83], v[82:83], s[10:11], v[84:85]
	v_fma_f64 v[84:85], v[103:104], s[4:5], v[163:164]
	v_fma_f64 v[111:112], v[94:95], s[4:5], v[167:168]
	v_fma_f64 v[74:75], v[94:95], s[10:11], v[74:75]
	v_fma_f64 v[94:95], v[103:104], s[10:11], v[107:108]
	v_fma_f64 v[103:104], v[173:174], s[4:5], v[169:170]
	v_fma_f64 v[107:108], v[32:33], s[4:5], v[183:184]
	v_fma_f64 v[32:33], v[32:33], s[10:11], v[72:73]
	v_fma_f64 v[72:73], v[173:174], s[10:11], v[117:118]
	v_fma_f64 v[78:79], v[46:47], s[4:5], v[78:79]
	v_fma_f64 v[70:71], v[145:146], s[10:11], v[70:71]
	v_add_f64_e32 v[0:1], v[6:7], v[14:15]
	v_add_f64_e32 v[6:7], v[30:31], v[8:9]
	;; [unrolled: 1-line block ×5, first 2 shown]
	v_mov_b32_e32 v141, v28
	v_mov_b32_e32 v139, v24
	;; [unrolled: 1-line block ×4, first 2 shown]
	v_lshlrev_b64_e32 v[98:99], 4, v[99:100]
	v_add_f64_e32 v[2:3], v[42:43], v[34:35]
	s_wait_alu 0xfffd
	v_add_co_ci_u32_e32 v65, vcc_lo, v69, v135, vcc_lo
	v_fma_f64 v[14:15], v[58:59], s[0:1], v[36:37]
	v_fma_f64 v[22:23], v[76:77], s[0:1], v[38:39]
	v_add_co_u32 v115, vcc_lo, v68, v136
	v_fma_f64 v[18:19], v[58:59], s[0:1], v[18:19]
	v_fma_f64 v[58:59], v[76:77], s[0:1], v[56:57]
	;; [unrolled: 1-line block ×22, first 2 shown]
	v_lshlrev_b64_e32 v[96:97], 4, v[96:97]
	s_wait_alu 0xfffd
	v_add_co_ci_u32_e32 v116, vcc_lo, v69, v137, vcc_lo
	v_lshlrev_b64_e32 v[66:67], 4, v[128:129]
	v_add_co_u32 v74, vcc_lo, v68, v98
	s_wait_alu 0xfffd
	v_add_co_ci_u32_e32 v75, vcc_lo, v69, v99, vcc_lo
	v_lshlrev_b64_e32 v[70:71], 4, v[138:139]
	v_add_co_u32 v76, vcc_lo, v68, v96
	;; [unrolled: 4-line block ×3, first 2 shown]
	s_wait_alu 0xfffd
	v_add_co_ci_u32_e32 v67, vcc_lo, v69, v67, vcc_lo
	v_add_co_u32 v70, vcc_lo, v68, v70
	s_wait_alu 0xfffd
	v_add_co_ci_u32_e32 v71, vcc_lo, v69, v71, vcc_lo
	v_add_co_u32 v68, vcc_lo, v68, v72
	s_wait_alu 0xfffd
	v_add_co_ci_u32_e32 v69, vcc_lo, v69, v73, vcc_lo
	s_clause 0xe
	global_store_b128 v[90:91], v[8:11], off
	global_store_b128 v[120:121], v[48:51], off
	;; [unrolled: 1-line block ×15, first 2 shown]
.LBB0_29:
	s_nop 0
	s_sendmsg sendmsg(MSG_DEALLOC_VGPRS)
	s_endpgm
	.section	.rodata,"a",@progbits
	.p2align	6, 0x0
	.amdhsa_kernel fft_rtc_fwd_len1890_factors_2_3_3_3_7_5_wgs_126_tpt_126_halfLds_dp_ip_CI_sbrr_dirReg
		.amdhsa_group_segment_fixed_size 0
		.amdhsa_private_segment_fixed_size 0
		.amdhsa_kernarg_size 88
		.amdhsa_user_sgpr_count 2
		.amdhsa_user_sgpr_dispatch_ptr 0
		.amdhsa_user_sgpr_queue_ptr 0
		.amdhsa_user_sgpr_kernarg_segment_ptr 1
		.amdhsa_user_sgpr_dispatch_id 0
		.amdhsa_user_sgpr_private_segment_size 0
		.amdhsa_wavefront_size32 1
		.amdhsa_uses_dynamic_stack 0
		.amdhsa_enable_private_segment 0
		.amdhsa_system_sgpr_workgroup_id_x 1
		.amdhsa_system_sgpr_workgroup_id_y 0
		.amdhsa_system_sgpr_workgroup_id_z 0
		.amdhsa_system_sgpr_workgroup_info 0
		.amdhsa_system_vgpr_workitem_id 0
		.amdhsa_next_free_vgpr 187
		.amdhsa_next_free_sgpr 35
		.amdhsa_reserve_vcc 1
		.amdhsa_float_round_mode_32 0
		.amdhsa_float_round_mode_16_64 0
		.amdhsa_float_denorm_mode_32 3
		.amdhsa_float_denorm_mode_16_64 3
		.amdhsa_fp16_overflow 0
		.amdhsa_workgroup_processor_mode 1
		.amdhsa_memory_ordered 1
		.amdhsa_forward_progress 0
		.amdhsa_round_robin_scheduling 0
		.amdhsa_exception_fp_ieee_invalid_op 0
		.amdhsa_exception_fp_denorm_src 0
		.amdhsa_exception_fp_ieee_div_zero 0
		.amdhsa_exception_fp_ieee_overflow 0
		.amdhsa_exception_fp_ieee_underflow 0
		.amdhsa_exception_fp_ieee_inexact 0
		.amdhsa_exception_int_div_zero 0
	.end_amdhsa_kernel
	.text
.Lfunc_end0:
	.size	fft_rtc_fwd_len1890_factors_2_3_3_3_7_5_wgs_126_tpt_126_halfLds_dp_ip_CI_sbrr_dirReg, .Lfunc_end0-fft_rtc_fwd_len1890_factors_2_3_3_3_7_5_wgs_126_tpt_126_halfLds_dp_ip_CI_sbrr_dirReg
                                        ; -- End function
	.section	.AMDGPU.csdata,"",@progbits
; Kernel info:
; codeLenInByte = 14592
; NumSgprs: 37
; NumVgprs: 187
; ScratchSize: 0
; MemoryBound: 1
; FloatMode: 240
; IeeeMode: 1
; LDSByteSize: 0 bytes/workgroup (compile time only)
; SGPRBlocks: 4
; VGPRBlocks: 23
; NumSGPRsForWavesPerEU: 37
; NumVGPRsForWavesPerEU: 187
; Occupancy: 8
; WaveLimiterHint : 1
; COMPUTE_PGM_RSRC2:SCRATCH_EN: 0
; COMPUTE_PGM_RSRC2:USER_SGPR: 2
; COMPUTE_PGM_RSRC2:TRAP_HANDLER: 0
; COMPUTE_PGM_RSRC2:TGID_X_EN: 1
; COMPUTE_PGM_RSRC2:TGID_Y_EN: 0
; COMPUTE_PGM_RSRC2:TGID_Z_EN: 0
; COMPUTE_PGM_RSRC2:TIDIG_COMP_CNT: 0
	.text
	.p2alignl 7, 3214868480
	.fill 96, 4, 3214868480
	.type	__hip_cuid_d04a6036f41d26ea,@object ; @__hip_cuid_d04a6036f41d26ea
	.section	.bss,"aw",@nobits
	.globl	__hip_cuid_d04a6036f41d26ea
__hip_cuid_d04a6036f41d26ea:
	.byte	0                               ; 0x0
	.size	__hip_cuid_d04a6036f41d26ea, 1

	.ident	"AMD clang version 19.0.0git (https://github.com/RadeonOpenCompute/llvm-project roc-6.4.0 25133 c7fe45cf4b819c5991fe208aaa96edf142730f1d)"
	.section	".note.GNU-stack","",@progbits
	.addrsig
	.addrsig_sym __hip_cuid_d04a6036f41d26ea
	.amdgpu_metadata
---
amdhsa.kernels:
  - .args:
      - .actual_access:  read_only
        .address_space:  global
        .offset:         0
        .size:           8
        .value_kind:     global_buffer
      - .offset:         8
        .size:           8
        .value_kind:     by_value
      - .actual_access:  read_only
        .address_space:  global
        .offset:         16
        .size:           8
        .value_kind:     global_buffer
      - .actual_access:  read_only
        .address_space:  global
        .offset:         24
        .size:           8
        .value_kind:     global_buffer
      - .offset:         32
        .size:           8
        .value_kind:     by_value
      - .actual_access:  read_only
        .address_space:  global
        .offset:         40
        .size:           8
        .value_kind:     global_buffer
      - .actual_access:  read_only
        .address_space:  global
        .offset:         48
        .size:           8
        .value_kind:     global_buffer
      - .offset:         56
        .size:           4
        .value_kind:     by_value
      - .actual_access:  read_only
        .address_space:  global
        .offset:         64
        .size:           8
        .value_kind:     global_buffer
      - .actual_access:  read_only
        .address_space:  global
        .offset:         72
        .size:           8
        .value_kind:     global_buffer
      - .address_space:  global
        .offset:         80
        .size:           8
        .value_kind:     global_buffer
    .group_segment_fixed_size: 0
    .kernarg_segment_align: 8
    .kernarg_segment_size: 88
    .language:       OpenCL C
    .language_version:
      - 2
      - 0
    .max_flat_workgroup_size: 126
    .name:           fft_rtc_fwd_len1890_factors_2_3_3_3_7_5_wgs_126_tpt_126_halfLds_dp_ip_CI_sbrr_dirReg
    .private_segment_fixed_size: 0
    .sgpr_count:     37
    .sgpr_spill_count: 0
    .symbol:         fft_rtc_fwd_len1890_factors_2_3_3_3_7_5_wgs_126_tpt_126_halfLds_dp_ip_CI_sbrr_dirReg.kd
    .uniform_work_group_size: 1
    .uses_dynamic_stack: false
    .vgpr_count:     187
    .vgpr_spill_count: 0
    .wavefront_size: 32
    .workgroup_processor_mode: 1
amdhsa.target:   amdgcn-amd-amdhsa--gfx1201
amdhsa.version:
  - 1
  - 2
...

	.end_amdgpu_metadata
